;; amdgpu-corpus repo=zjin-lcf/HeCBench kind=compiled arch=gfx1250 opt=O3
	.amdgcn_target "amdgcn-amd-amdhsa--gfx1250"
	.amdhsa_code_object_version 6
	.section	.text._Z14vol2col_kernelIfEvlPKT_iiiiiiiiiiiiiiiiiiPS0_,"axG",@progbits,_Z14vol2col_kernelIfEvlPKT_iiiiiiiiiiiiiiiiiiPS0_,comdat
	.protected	_Z14vol2col_kernelIfEvlPKT_iiiiiiiiiiiiiiiiiiPS0_ ; -- Begin function _Z14vol2col_kernelIfEvlPKT_iiiiiiiiiiiiiiiiiiPS0_
	.globl	_Z14vol2col_kernelIfEvlPKT_iiiiiiiiiiiiiiiiiiPS0_
	.p2align	8
	.type	_Z14vol2col_kernelIfEvlPKT_iiiiiiiiiiiiiiiiiiPS0_,@function
_Z14vol2col_kernelIfEvlPKT_iiiiiiiiiiiiiiiiiiPS0_: ; @_Z14vol2col_kernelIfEvlPKT_iiiiiiiiiiiiiiiiiiPS0_
; %bb.0:
	s_clause 0x1
	s_load_b32 s2, s[0:1], 0x6c
	s_load_b128 s[20:23], s[0:1], 0x0
	s_bfe_u32 s3, ttmp6, 0x4000c
	s_and_b32 s4, ttmp6, 15
	s_add_co_i32 s3, s3, 1
	s_getreg_b32 s5, hwreg(HW_REG_IB_STS2, 6, 4)
	s_mul_i32 s3, ttmp9, s3
	v_mov_b32_e32 v2, 0
	s_add_co_i32 s4, s4, s3
	s_delay_alu instid0(VALU_DEP_1)
	v_mov_b32_e32 v1, v2
	s_wait_kmcnt 0x0
	s_and_b32 s2, s2, 0xffff
	s_cmp_eq_u32 s5, 0
	s_cselect_b32 s3, ttmp9, s4
	s_mov_b32 s4, exec_lo
	v_mad_u32 v0, s3, s2, v0
	s_mov_b32 s3, 0
	s_delay_alu instid0(VALU_DEP_1)
	v_cmpx_gt_i64_e64 s[20:21], v[0:1]
	s_cbranch_execz .LBB0_26
; %bb.1:
	s_clause 0x1
	s_load_b128 s[24:27], s[0:1], 0x50
	s_load_b512 s[4:19], s[0:1], 0x10
	s_wait_xcnt 0x0
	s_add_nc_u64 s[0:1], s[0:1], 0x60
	s_mov_b64 s[40:41], 0xffffffff
	s_load_b32 s36, s[0:1], 0x0
	s_mov_b32 s54, 0
	s_wait_kmcnt 0x0
	s_mov_b32 s28, s25
	s_ashr_i32 s29, s25, 31
	v_cvt_f32_u32_e32 v3, s28
	s_ashr_i32 s31, s24, 31
	s_ashr_i32 s35, s19, 31
	s_cmp_gt_i32 s7, 0
	s_mul_i32 s1, s24, s19
	v_rcp_iflag_f32_e32 v3, v3
	s_cselect_b32 s33, -1, 0
	s_cmp_gt_i32 s8, 0
	s_mul_i32 s52, s16, s6
	s_cselect_b32 s50, -1, 0
	s_cmp_gt_i32 s9, 0
	s_mov_b32 s30, s24
	v_nop
	v_mul_f32_e32 v3, 0x4f7ffffe, v3
	s_cselect_b32 s51, -1, 0
	s_sub_co_i32 s0, 0, s25
	s_mov_b32 s34, s19
	s_mul_i32 s36, s36, s2
	v_cvt_u32_f32_e32 v3, v3
	s_mul_i32 s52, s52, s5
	s_mul_i32 s53, s17, s6
	s_ashr_i32 s42, s29, 31
	s_ashr_i32 s44, s31, 31
	v_mul_lo_u32 v4, s0, v3
	s_mul_i32 s0, s8, s9
	s_delay_alu instid0(SALU_CYCLE_1)
	s_mul_i32 s37, s0, s19
	s_mul_i32 s0, s1, s25
	;; [unrolled: 1-line block ×3, first 2 shown]
	s_ashr_i32 s1, s0, 31
	s_mov_b32 s37, s3
	s_lshl_b64 s[38:39], s[0:1], 2
	s_delay_alu instid0(VALU_DEP_1) | instskip(NEXT) | instid1(VALU_DEP_1)
	v_mul_hi_u32 v4, v3, v4
	v_add_nc_u32_e32 v10, v3, v4
	s_branch .LBB0_3
.LBB0_2:                                ;   in Loop: Header=BB0_3 Depth=1
	v_add_nc_u64_e32 v[0:1], s[36:37], v[0:1]
	s_delay_alu instid0(VALU_DEP_1) | instskip(SKIP_1) | instid1(SALU_CYCLE_1)
	v_cmp_le_i64_e32 vcc_lo, s[20:21], v[0:1]
	s_or_b32 s54, vcc_lo, s54
	s_and_not1_b32 exec_lo, exec_lo, s54
	s_cbranch_execz .LBB0_26
.LBB0_3:                                ; =>This Loop Header: Depth=1
                                        ;     Child Loop BB0_18 Depth 2
                                        ;       Child Loop BB0_21 Depth 3
                                        ;         Child Loop BB0_24 Depth 4
	v_or_b32_e32 v3, s29, v1
                                        ; implicit-def: $vgpr4_vgpr5
	s_mov_b32 s0, exec_lo
	s_delay_alu instid0(VALU_DEP_1)
	v_cmpx_ne_u64_e32 0, v[2:3]
	s_xor_b32 s1, exec_lo, s0
	s_cbranch_execz .LBB0_5
; %bb.4:                                ;   in Loop: Header=BB0_3 Depth=1
	s_mov_b32 s43, s42
	v_dual_mov_b32 v9, v2 :: v_dual_ashrrev_i32 v4, 31, v1
	s_add_nc_u64 s[46:47], s[28:29], s[42:43]
	v_mov_b32_e32 v19, v2
	s_xor_b64 s[46:47], s[46:47], s[42:43]
	s_delay_alu instid0(VALU_DEP_2) | instskip(SKIP_3) | instid1(VALU_DEP_1)
	v_mov_b32_e32 v5, v4
	s_cvt_f32_u32 s0, s46
	s_cvt_f32_u32 s2, s47
	s_sub_nc_u64 s[56:57], 0, s[46:47]
	v_add_nc_u64_e32 v[6:7], v[0:1], v[4:5]
	s_delay_alu instid0(SALU_CYCLE_1) | instskip(SKIP_1) | instid1(SALU_CYCLE_2)
	s_fmamk_f32 s0, s2, 0x4f800000, s0
	v_mov_b32_e32 v15, v2
	v_s_rcp_f32 s0, s0
	s_delay_alu instid0(VALU_DEP_2) | instskip(NEXT) | instid1(VALU_DEP_3)
	v_xor_b32_e32 v8, v6, v4
	v_xor_b32_e32 v14, v7, v4
	;; [unrolled: 1-line block ×3, first 2 shown]
	s_delay_alu instid0(TRANS32_DEP_1) | instskip(NEXT) | instid1(SALU_CYCLE_3)
	s_mul_f32 s0, s0, 0x5f7ffffc
	s_mul_f32 s2, s0, 0x2f800000
	s_delay_alu instid0(SALU_CYCLE_3) | instskip(NEXT) | instid1(SALU_CYCLE_3)
	s_trunc_f32 s2, s2
	s_fmamk_f32 s0, s2, 0xcf800000, s0
	s_cvt_u32_f32 s49, s2
	s_delay_alu instid0(SALU_CYCLE_2) | instskip(NEXT) | instid1(SALU_CYCLE_3)
	s_cvt_u32_f32 s48, s0
	s_mul_u64 s[58:59], s[56:57], s[48:49]
	s_delay_alu instid0(SALU_CYCLE_1)
	s_mul_hi_u32 s61, s48, s59
	s_mul_i32 s60, s48, s59
	s_mul_hi_u32 s2, s48, s58
	s_mul_i32 s43, s49, s58
	s_add_nc_u64 s[60:61], s[2:3], s[60:61]
	s_mul_hi_u32 s0, s49, s58
	s_mul_hi_u32 s45, s49, s59
	s_add_co_u32 s2, s60, s43
	s_add_co_ci_u32 s2, s61, s0
	s_mul_i32 s58, s49, s59
	s_add_co_ci_u32 s59, s45, 0
	s_delay_alu instid0(SALU_CYCLE_1) | instskip(NEXT) | instid1(SALU_CYCLE_1)
	s_add_nc_u64 s[58:59], s[2:3], s[58:59]
	s_add_co_u32 s48, s48, s58
	s_cselect_b32 s0, -1, 0
	s_delay_alu instid0(SALU_CYCLE_1) | instskip(SKIP_1) | instid1(SALU_CYCLE_1)
	s_cmp_lg_u32 s0, 0
	s_add_co_ci_u32 s49, s49, s59
	s_mul_u64 s[56:57], s[56:57], s[48:49]
	s_delay_alu instid0(SALU_CYCLE_1)
	s_mul_hi_u32 s59, s48, s57
	s_mul_i32 s58, s48, s57
	s_mul_hi_u32 s2, s48, s56
	s_mul_i32 s43, s49, s56
	s_add_nc_u64 s[58:59], s[2:3], s[58:59]
	s_mul_hi_u32 s0, s49, s56
	s_mul_hi_u32 s45, s49, s57
	s_add_co_u32 s2, s58, s43
	s_add_co_ci_u32 s2, s59, s0
	s_mul_i32 s56, s49, s57
	s_add_co_ci_u32 s57, s45, 0
	s_delay_alu instid0(SALU_CYCLE_1) | instskip(NEXT) | instid1(SALU_CYCLE_1)
	s_add_nc_u64 s[56:57], s[2:3], s[56:57]
	s_add_co_u32 s0, s48, s56
	s_cselect_b32 s2, -1, 0
	v_mul_hi_u32 v18, v8, s0
	s_cmp_lg_u32 s2, 0
	s_add_co_ci_u32 s2, s49, s57
	s_and_b64 s[48:49], s[0:1], s[40:41]
	v_mul_u64_e32 v[12:13], s[2:3], v[8:9]
	v_mul_u64_e32 v[6:7], s[48:49], v[14:15]
	;; [unrolled: 1-line block ×3, first 2 shown]
	s_delay_alu instid0(VALU_DEP_3) | instskip(NEXT) | instid1(VALU_DEP_1)
	v_add_nc_u64_e32 v[12:13], v[18:19], v[12:13]
	v_add_co_u32 v3, vcc_lo, v12, v6
	s_delay_alu instid0(VALU_DEP_2) | instskip(NEXT) | instid1(VALU_DEP_4)
	v_add_co_ci_u32_e32 v18, vcc_lo, v13, v7, vcc_lo
	v_add_co_ci_u32_e32 v17, vcc_lo, 0, v17, vcc_lo
	s_delay_alu instid0(VALU_DEP_1) | instskip(NEXT) | instid1(VALU_DEP_1)
	v_add_nc_u64_e32 v[6:7], v[18:19], v[16:17]
	v_mul_u64_e32 v[12:13], s[46:47], v[6:7]
	s_delay_alu instid0(VALU_DEP_1) | instskip(NEXT) | instid1(VALU_DEP_2)
	v_sub_nc_u32_e32 v3, v14, v13
	v_sub_co_u32 v5, vcc_lo, v8, v12
	s_delay_alu instid0(VALU_DEP_1) | instskip(NEXT) | instid1(VALU_DEP_3)
	v_sub_co_ci_u32_e64 v11, null, v14, v13, vcc_lo
	v_subrev_co_ci_u32_e64 v3, null, s47, v3, vcc_lo
	s_delay_alu instid0(VALU_DEP_3) | instskip(SKIP_1) | instid1(VALU_DEP_3)
	v_sub_co_u32 v8, s0, v5, s46
	v_add_nc_u64_e32 v[12:13], 1, v[6:7]
	v_subrev_co_ci_u32_e64 v3, null, 0, v3, s0
	s_delay_alu instid0(VALU_DEP_3) | instskip(SKIP_1) | instid1(VALU_DEP_3)
	v_cmp_le_u32_e32 vcc_lo, s46, v8
	v_cndmask_b32_e64 v8, 0, -1, vcc_lo
	v_cmp_le_u32_e32 vcc_lo, s47, v3
	v_cndmask_b32_e64 v9, 0, -1, vcc_lo
	;; [unrolled: 2-line block ×4, first 2 shown]
	v_cmp_eq_u32_e32 vcc_lo, s47, v3
	v_cndmask_b32_e32 v3, v9, v8, vcc_lo
	v_cmp_eq_u32_e32 vcc_lo, s47, v11
	v_add_nc_u64_e32 v[8:9], 2, v[6:7]
	v_cndmask_b32_e32 v5, v14, v5, vcc_lo
	s_delay_alu instid0(VALU_DEP_4) | instskip(NEXT) | instid1(VALU_DEP_2)
	v_cmp_ne_u32_e32 vcc_lo, 0, v3
	v_cmp_ne_u32_e64 s0, 0, v5
	s_delay_alu instid0(VALU_DEP_4) | instskip(NEXT) | instid1(VALU_DEP_1)
	v_dual_cndmask_b32 v3, v13, v9, vcc_lo :: v_dual_cndmask_b32 v5, v12, v8, vcc_lo
	v_dual_cndmask_b32 v6, v6, v5, s0 :: v_dual_mov_b32 v5, v4
	s_delay_alu instid0(VALU_DEP_1) | instskip(NEXT) | instid1(VALU_DEP_1)
	v_dual_cndmask_b32 v3, v7, v3, s0 :: v_dual_bitop2_b32 v6, v6, v4 bitop3:0x14
	v_xor_b32_e32 v7, v3, v4
	s_delay_alu instid0(VALU_DEP_1)
	v_sub_nc_u64_e32 v[4:5], v[6:7], v[4:5]
.LBB0_5:                                ;   in Loop: Header=BB0_3 Depth=1
	s_and_not1_saveexec_b32 s0, s1
	s_cbranch_execz .LBB0_7
; %bb.6:                                ;   in Loop: Header=BB0_3 Depth=1
	v_mul_hi_u32 v3, v0, v10
	s_delay_alu instid0(VALU_DEP_1) | instskip(NEXT) | instid1(VALU_DEP_1)
	v_mul_lo_u32 v4, v3, s28
	v_dual_add_nc_u32 v5, 1, v3 :: v_dual_sub_nc_u32 v4, v0, v4
	s_delay_alu instid0(VALU_DEP_1) | instskip(SKIP_1) | instid1(VALU_DEP_2)
	v_subrev_nc_u32_e32 v6, s28, v4
	v_cmp_le_u32_e32 vcc_lo, s28, v4
	v_dual_cndmask_b32 v4, v4, v6 :: v_dual_cndmask_b32 v3, v3, v5
	s_delay_alu instid0(VALU_DEP_1) | instskip(NEXT) | instid1(VALU_DEP_2)
	v_cmp_le_u32_e32 vcc_lo, s28, v4
	v_add_nc_u32_e32 v5, 1, v3
	s_delay_alu instid0(VALU_DEP_1)
	v_dual_cndmask_b32 v4, v3, v5 :: v_dual_mov_b32 v5, v2
.LBB0_7:                                ;   in Loop: Header=BB0_3 Depth=1
	s_or_b32 exec_lo, exec_lo, s0
	s_delay_alu instid0(VALU_DEP_1) | instskip(SKIP_1) | instid1(VALU_DEP_1)
	v_or_b32_e32 v3, s31, v5
                                        ; implicit-def: $vgpr6_vgpr7
	s_mov_b32 s0, exec_lo
	v_cmpx_ne_u64_e32 0, v[2:3]
	s_xor_b32 s1, exec_lo, s0
	s_cbranch_execz .LBB0_9
; %bb.8:                                ;   in Loop: Header=BB0_3 Depth=1
	s_mov_b32 s45, s44
	v_dual_mov_b32 v13, v2 :: v_dual_ashrrev_i32 v6, 31, v5
	s_add_nc_u64 s[46:47], s[30:31], s[44:45]
	s_delay_alu instid0(SALU_CYCLE_1) | instskip(NEXT) | instid1(VALU_DEP_1)
	s_xor_b64 s[46:47], s[46:47], s[44:45]
	v_mov_b32_e32 v7, v6
	s_cvt_f32_u32 s0, s46
	s_cvt_f32_u32 s2, s47
	s_sub_nc_u64 s[56:57], 0, s[46:47]
	s_delay_alu instid0(VALU_DEP_1) | instskip(NEXT) | instid1(SALU_CYCLE_1)
	v_add_nc_u64_e32 v[8:9], v[4:5], v[6:7]
	s_fmamk_f32 s0, s2, 0x4f800000, s0
	v_mov_b32_e32 v17, v2
	s_delay_alu instid0(SALU_CYCLE_2) | instskip(NEXT) | instid1(VALU_DEP_2)
	v_s_rcp_f32 s0, s0
	v_xor_b32_e32 v12, v8, v6
	s_delay_alu instid0(VALU_DEP_3) | instskip(NEXT) | instid1(TRANS32_DEP_1)
	v_dual_mov_b32 v21, v2 :: v_dual_bitop2_b32 v16, v9, v6 bitop3:0x14
	s_mul_f32 s0, s0, 0x5f7ffffc
	s_delay_alu instid0(SALU_CYCLE_3) | instskip(NEXT) | instid1(SALU_CYCLE_3)
	s_mul_f32 s2, s0, 0x2f800000
	s_trunc_f32 s2, s2
	s_delay_alu instid0(SALU_CYCLE_3) | instskip(SKIP_1) | instid1(SALU_CYCLE_2)
	s_fmamk_f32 s0, s2, 0xcf800000, s0
	s_cvt_u32_f32 s49, s2
	s_cvt_u32_f32 s48, s0
	s_delay_alu instid0(SALU_CYCLE_3) | instskip(NEXT) | instid1(SALU_CYCLE_1)
	s_mul_u64 s[58:59], s[56:57], s[48:49]
	s_mul_hi_u32 s61, s48, s59
	s_mul_i32 s60, s48, s59
	s_mul_hi_u32 s2, s48, s58
	s_mul_i32 s43, s49, s58
	s_add_nc_u64 s[60:61], s[2:3], s[60:61]
	s_mul_hi_u32 s0, s49, s58
	s_mul_hi_u32 s45, s49, s59
	s_add_co_u32 s2, s60, s43
	s_add_co_ci_u32 s2, s61, s0
	s_mul_i32 s58, s49, s59
	s_add_co_ci_u32 s59, s45, 0
	s_delay_alu instid0(SALU_CYCLE_1) | instskip(NEXT) | instid1(SALU_CYCLE_1)
	s_add_nc_u64 s[58:59], s[2:3], s[58:59]
	s_add_co_u32 s48, s48, s58
	s_cselect_b32 s0, -1, 0
	s_delay_alu instid0(SALU_CYCLE_1) | instskip(SKIP_1) | instid1(SALU_CYCLE_1)
	s_cmp_lg_u32 s0, 0
	s_add_co_ci_u32 s49, s49, s59
	s_mul_u64 s[56:57], s[56:57], s[48:49]
	s_delay_alu instid0(SALU_CYCLE_1)
	s_mul_hi_u32 s59, s48, s57
	s_mul_i32 s58, s48, s57
	s_mul_hi_u32 s2, s48, s56
	s_mul_i32 s43, s49, s56
	s_add_nc_u64 s[58:59], s[2:3], s[58:59]
	s_mul_hi_u32 s0, s49, s56
	s_mul_hi_u32 s45, s49, s57
	s_add_co_u32 s2, s58, s43
	s_add_co_ci_u32 s2, s59, s0
	s_mul_i32 s56, s49, s57
	s_add_co_ci_u32 s57, s45, 0
	s_delay_alu instid0(SALU_CYCLE_1) | instskip(NEXT) | instid1(SALU_CYCLE_1)
	s_add_nc_u64 s[56:57], s[2:3], s[56:57]
	s_add_co_u32 s0, s48, s56
	s_cselect_b32 s2, -1, 0
	v_mul_hi_u32 v20, v12, s0
	s_cmp_lg_u32 s2, 0
	s_add_co_ci_u32 s2, s49, s57
	s_and_b64 s[48:49], s[0:1], s[40:41]
	v_mul_u64_e32 v[14:15], s[2:3], v[12:13]
	v_mul_u64_e32 v[8:9], s[48:49], v[16:17]
	;; [unrolled: 1-line block ×3, first 2 shown]
	s_delay_alu instid0(VALU_DEP_3) | instskip(NEXT) | instid1(VALU_DEP_1)
	v_add_nc_u64_e32 v[14:15], v[20:21], v[14:15]
	v_add_co_u32 v3, vcc_lo, v14, v8
	s_delay_alu instid0(VALU_DEP_2) | instskip(NEXT) | instid1(VALU_DEP_4)
	v_add_co_ci_u32_e32 v20, vcc_lo, v15, v9, vcc_lo
	v_add_co_ci_u32_e32 v19, vcc_lo, 0, v19, vcc_lo
	s_delay_alu instid0(VALU_DEP_1) | instskip(NEXT) | instid1(VALU_DEP_1)
	v_add_nc_u64_e32 v[8:9], v[20:21], v[18:19]
	v_mul_u64_e32 v[14:15], s[46:47], v[8:9]
	s_delay_alu instid0(VALU_DEP_1) | instskip(NEXT) | instid1(VALU_DEP_2)
	v_sub_nc_u32_e32 v3, v16, v15
	v_sub_co_u32 v7, vcc_lo, v12, v14
	s_delay_alu instid0(VALU_DEP_1) | instskip(NEXT) | instid1(VALU_DEP_3)
	v_sub_co_ci_u32_e64 v16, null, v16, v15, vcc_lo
	v_subrev_co_ci_u32_e64 v3, null, s47, v3, vcc_lo
	s_delay_alu instid0(VALU_DEP_3) | instskip(SKIP_1) | instid1(VALU_DEP_3)
	v_sub_co_u32 v11, s0, v7, s46
	v_add_nc_u64_e32 v[14:15], 1, v[8:9]
	v_subrev_co_ci_u32_e64 v3, null, 0, v3, s0
	s_delay_alu instid0(VALU_DEP_3) | instskip(SKIP_1) | instid1(VALU_DEP_3)
	v_cmp_le_u32_e32 vcc_lo, s46, v11
	v_cndmask_b32_e64 v11, 0, -1, vcc_lo
	v_cmp_le_u32_e32 vcc_lo, s47, v3
	v_cndmask_b32_e64 v12, 0, -1, vcc_lo
	;; [unrolled: 2-line block ×4, first 2 shown]
	v_cmp_eq_u32_e32 vcc_lo, s47, v3
	v_cndmask_b32_e32 v3, v12, v11, vcc_lo
	v_cmp_eq_u32_e32 vcc_lo, s47, v16
	v_add_nc_u64_e32 v[12:13], 2, v[8:9]
	v_cndmask_b32_e32 v7, v17, v7, vcc_lo
	s_delay_alu instid0(VALU_DEP_4) | instskip(NEXT) | instid1(VALU_DEP_3)
	v_cmp_ne_u32_e32 vcc_lo, 0, v3
	v_cndmask_b32_e32 v3, v15, v13, vcc_lo
	s_delay_alu instid0(VALU_DEP_3) | instskip(SKIP_1) | instid1(VALU_DEP_2)
	v_cmp_ne_u32_e64 s0, 0, v7
	v_dual_cndmask_b32 v7, v14, v12, vcc_lo :: v_dual_bitop2_b32 v6, s44, v6 bitop3:0x14
	v_cndmask_b32_e64 v3, v9, v3, s0
	s_delay_alu instid0(VALU_DEP_2) | instskip(NEXT) | instid1(VALU_DEP_2)
	v_dual_cndmask_b32 v8, v8, v7, s0 :: v_dual_mov_b32 v7, v6
	v_xor_b32_e32 v9, v3, v6
	s_delay_alu instid0(VALU_DEP_2) | instskip(NEXT) | instid1(VALU_DEP_1)
	v_xor_b32_e32 v8, v8, v6
	v_sub_nc_u64_e32 v[6:7], v[8:9], v[6:7]
.LBB0_9:                                ;   in Loop: Header=BB0_3 Depth=1
	s_and_not1_saveexec_b32 s0, s1
	s_cbranch_execz .LBB0_11
; %bb.10:                               ;   in Loop: Header=BB0_3 Depth=1
	v_cvt_f32_u32_e32 v3, s30
	s_sub_co_i32 s1, 0, s30
	s_delay_alu instid0(VALU_DEP_1) | instskip(SKIP_1) | instid1(TRANS32_DEP_1)
	v_rcp_iflag_f32_e32 v3, v3
	v_nop
	v_mul_f32_e32 v3, 0x4f7ffffe, v3
	s_delay_alu instid0(VALU_DEP_1) | instskip(NEXT) | instid1(VALU_DEP_1)
	v_cvt_u32_f32_e32 v3, v3
	v_mul_lo_u32 v6, s1, v3
	s_delay_alu instid0(VALU_DEP_1) | instskip(NEXT) | instid1(VALU_DEP_1)
	v_mul_hi_u32 v6, v3, v6
	v_add_nc_u32_e32 v3, v3, v6
	s_delay_alu instid0(VALU_DEP_1) | instskip(NEXT) | instid1(VALU_DEP_1)
	v_mul_hi_u32 v3, v4, v3
	v_mul_lo_u32 v6, v3, s30
	s_delay_alu instid0(VALU_DEP_1) | instskip(NEXT) | instid1(VALU_DEP_1)
	v_dual_add_nc_u32 v7, 1, v3 :: v_dual_sub_nc_u32 v6, v4, v6
	v_subrev_nc_u32_e32 v8, s30, v6
	v_cmp_le_u32_e32 vcc_lo, s30, v6
	s_delay_alu instid0(VALU_DEP_2) | instskip(NEXT) | instid1(VALU_DEP_1)
	v_dual_cndmask_b32 v6, v6, v8 :: v_dual_cndmask_b32 v3, v3, v7
	v_cmp_le_u32_e32 vcc_lo, s30, v6
	s_delay_alu instid0(VALU_DEP_2) | instskip(NEXT) | instid1(VALU_DEP_1)
	v_add_nc_u32_e32 v7, 1, v3
	v_dual_cndmask_b32 v6, v3, v7 :: v_dual_mov_b32 v7, v2
.LBB0_11:                               ;   in Loop: Header=BB0_3 Depth=1
	s_or_b32 exec_lo, exec_lo, s0
	s_delay_alu instid0(VALU_DEP_1) | instskip(SKIP_1) | instid1(VALU_DEP_1)
	v_or_b32_e32 v3, s35, v7
                                        ; implicit-def: $vgpr8_vgpr9
	s_mov_b32 s0, exec_lo
	v_cmpx_ne_u64_e32 0, v[2:3]
	s_xor_b32 s1, exec_lo, s0
	s_cbranch_execnz .LBB0_14
; %bb.12:                               ;   in Loop: Header=BB0_3 Depth=1
	s_and_not1_saveexec_b32 s0, s1
	s_cbranch_execnz .LBB0_15
.LBB0_13:                               ;   in Loop: Header=BB0_3 Depth=1
	s_or_b32 exec_lo, exec_lo, s0
	s_delay_alu instid0(SALU_CYCLE_1)
	s_and_not1_b32 vcc_lo, exec_lo, s33
	s_cbranch_vccz .LBB0_16
	s_branch .LBB0_2
.LBB0_14:                               ;   in Loop: Header=BB0_3 Depth=1
	s_ashr_i32 s46, s35, 31
	v_dual_mov_b32 v15, v2 :: v_dual_ashrrev_i32 v8, 31, v7
	s_mov_b32 s47, s46
	v_mov_b32_e32 v19, v2
	s_add_nc_u64 s[48:49], s[34:35], s[46:47]
	s_delay_alu instid0(VALU_DEP_2)
	v_mov_b32_e32 v9, v8
	s_xor_b64 s[48:49], s[48:49], s[46:47]
	v_mov_b32_e32 v23, v2
	s_cvt_f32_u32 s0, s48
	s_cvt_f32_u32 s2, s49
	s_sub_nc_u64 s[58:59], 0, s[48:49]
	v_add_nc_u64_e32 v[12:13], v[6:7], v[8:9]
	s_delay_alu instid0(SALU_CYCLE_1) | instskip(NEXT) | instid1(SALU_CYCLE_3)
	s_fmamk_f32 s0, s2, 0x4f800000, s0
	v_s_rcp_f32 s0, s0
	s_delay_alu instid0(VALU_DEP_1) | instskip(NEXT) | instid1(VALU_DEP_2)
	v_xor_b32_e32 v14, v12, v8
	v_xor_b32_e32 v18, v13, v8
	s_delay_alu instid0(TRANS32_DEP_1) | instskip(NEXT) | instid1(SALU_CYCLE_3)
	s_mul_f32 s0, s0, 0x5f7ffffc
	s_mul_f32 s2, s0, 0x2f800000
	s_delay_alu instid0(SALU_CYCLE_3) | instskip(NEXT) | instid1(SALU_CYCLE_3)
	s_trunc_f32 s2, s2
	s_fmamk_f32 s0, s2, 0xcf800000, s0
	s_cvt_u32_f32 s57, s2
	s_delay_alu instid0(SALU_CYCLE_2) | instskip(NEXT) | instid1(SALU_CYCLE_3)
	s_cvt_u32_f32 s56, s0
	s_mul_u64 s[60:61], s[58:59], s[56:57]
	s_delay_alu instid0(SALU_CYCLE_1)
	s_mul_hi_u32 s63, s56, s61
	s_mul_i32 s62, s56, s61
	s_mul_hi_u32 s2, s56, s60
	s_mul_i32 s43, s57, s60
	s_add_nc_u64 s[62:63], s[2:3], s[62:63]
	s_mul_hi_u32 s0, s57, s60
	s_mul_hi_u32 s45, s57, s61
	s_add_co_u32 s2, s62, s43
	s_add_co_ci_u32 s2, s63, s0
	s_mul_i32 s60, s57, s61
	s_add_co_ci_u32 s61, s45, 0
	s_delay_alu instid0(SALU_CYCLE_1) | instskip(NEXT) | instid1(SALU_CYCLE_1)
	s_add_nc_u64 s[60:61], s[2:3], s[60:61]
	s_add_co_u32 s56, s56, s60
	s_cselect_b32 s0, -1, 0
	s_delay_alu instid0(SALU_CYCLE_1) | instskip(SKIP_1) | instid1(SALU_CYCLE_1)
	s_cmp_lg_u32 s0, 0
	s_add_co_ci_u32 s57, s57, s61
	s_mul_u64 s[58:59], s[58:59], s[56:57]
	s_delay_alu instid0(SALU_CYCLE_1)
	s_mul_hi_u32 s61, s56, s59
	s_mul_i32 s60, s56, s59
	s_mul_hi_u32 s2, s56, s58
	s_mul_i32 s43, s57, s58
	s_add_nc_u64 s[60:61], s[2:3], s[60:61]
	s_mul_hi_u32 s0, s57, s58
	s_mul_hi_u32 s45, s57, s59
	s_add_co_u32 s2, s60, s43
	s_add_co_ci_u32 s2, s61, s0
	s_mul_i32 s58, s57, s59
	s_add_co_ci_u32 s59, s45, 0
	s_delay_alu instid0(SALU_CYCLE_1) | instskip(NEXT) | instid1(SALU_CYCLE_1)
	s_add_nc_u64 s[58:59], s[2:3], s[58:59]
	s_add_co_u32 s0, s56, s58
	s_cselect_b32 s2, -1, 0
	v_mul_hi_u32 v22, v14, s0
	s_cmp_lg_u32 s2, 0
	s_add_co_ci_u32 s2, s57, s59
	s_and_b64 s[56:57], s[0:1], s[40:41]
	v_mul_u64_e32 v[16:17], s[2:3], v[14:15]
	v_mul_u64_e32 v[12:13], s[56:57], v[18:19]
	;; [unrolled: 1-line block ×3, first 2 shown]
	s_delay_alu instid0(VALU_DEP_3) | instskip(NEXT) | instid1(VALU_DEP_1)
	v_add_nc_u64_e32 v[16:17], v[22:23], v[16:17]
	v_add_co_u32 v3, vcc_lo, v16, v12
	s_delay_alu instid0(VALU_DEP_2) | instskip(NEXT) | instid1(VALU_DEP_4)
	v_add_co_ci_u32_e32 v22, vcc_lo, v17, v13, vcc_lo
	v_add_co_ci_u32_e32 v21, vcc_lo, 0, v21, vcc_lo
	s_delay_alu instid0(VALU_DEP_1) | instskip(NEXT) | instid1(VALU_DEP_1)
	v_add_nc_u64_e32 v[12:13], v[22:23], v[20:21]
	v_mul_u64_e32 v[16:17], s[48:49], v[12:13]
	s_delay_alu instid0(VALU_DEP_1) | instskip(NEXT) | instid1(VALU_DEP_2)
	v_sub_nc_u32_e32 v3, v18, v17
	v_sub_co_u32 v7, vcc_lo, v14, v16
	s_delay_alu instid0(VALU_DEP_1) | instskip(NEXT) | instid1(VALU_DEP_3)
	v_sub_co_ci_u32_e64 v11, null, v18, v17, vcc_lo
	v_subrev_co_ci_u32_e64 v3, null, s49, v3, vcc_lo
	s_delay_alu instid0(VALU_DEP_3) | instskip(SKIP_1) | instid1(VALU_DEP_3)
	v_sub_co_u32 v9, s0, v7, s48
	v_add_nc_u64_e32 v[16:17], 1, v[12:13]
	v_subrev_co_ci_u32_e64 v3, null, 0, v3, s0
	s_delay_alu instid0(VALU_DEP_3) | instskip(SKIP_1) | instid1(VALU_DEP_3)
	v_cmp_le_u32_e32 vcc_lo, s48, v9
	v_cndmask_b32_e64 v9, 0, -1, vcc_lo
	v_cmp_le_u32_e32 vcc_lo, s49, v3
	v_cndmask_b32_e64 v14, 0, -1, vcc_lo
	;; [unrolled: 2-line block ×4, first 2 shown]
	v_cmp_eq_u32_e32 vcc_lo, s49, v3
	v_cndmask_b32_e32 v3, v14, v9, vcc_lo
	v_cmp_eq_u32_e32 vcc_lo, s49, v11
	v_add_nc_u64_e32 v[14:15], 2, v[12:13]
	v_cndmask_b32_e32 v7, v18, v7, vcc_lo
	s_delay_alu instid0(VALU_DEP_4) | instskip(NEXT) | instid1(VALU_DEP_2)
	v_cmp_ne_u32_e32 vcc_lo, 0, v3
	v_cmp_ne_u32_e64 s0, 0, v7
	s_delay_alu instid0(VALU_DEP_4) | instskip(NEXT) | instid1(VALU_DEP_1)
	v_dual_cndmask_b32 v3, v17, v15, vcc_lo :: v_dual_cndmask_b32 v7, v16, v14, vcc_lo
	v_dual_cndmask_b32 v3, v13, v3, s0 :: v_dual_bitop2_b32 v8, s46, v8 bitop3:0x14
	s_delay_alu instid0(VALU_DEP_1) | instskip(NEXT) | instid1(VALU_DEP_1)
	v_dual_cndmask_b32 v7, v12, v7, s0 :: v_dual_bitop2_b32 v13, v3, v8 bitop3:0x14
	v_dual_mov_b32 v9, v8 :: v_dual_bitop2_b32 v12, v7, v8 bitop3:0x14
	s_delay_alu instid0(VALU_DEP_1)
	v_sub_nc_u64_e32 v[8:9], v[12:13], v[8:9]
	s_and_not1_saveexec_b32 s0, s1
	s_cbranch_execz .LBB0_13
.LBB0_15:                               ;   in Loop: Header=BB0_3 Depth=1
	v_cvt_f32_u32_e32 v3, s34
	s_sub_co_i32 s1, 0, s34
	s_delay_alu instid0(VALU_DEP_1) | instskip(SKIP_1) | instid1(TRANS32_DEP_1)
	v_rcp_iflag_f32_e32 v3, v3
	v_nop
	v_mul_f32_e32 v3, 0x4f7ffffe, v3
	s_delay_alu instid0(VALU_DEP_1) | instskip(NEXT) | instid1(VALU_DEP_1)
	v_cvt_u32_f32_e32 v3, v3
	v_mul_lo_u32 v7, s1, v3
	s_delay_alu instid0(VALU_DEP_1) | instskip(NEXT) | instid1(VALU_DEP_1)
	v_mul_hi_u32 v7, v3, v7
	v_add_nc_u32_e32 v3, v3, v7
	s_delay_alu instid0(VALU_DEP_1) | instskip(NEXT) | instid1(VALU_DEP_1)
	v_mul_hi_u32 v3, v6, v3
	v_mul_lo_u32 v7, v3, s34
	s_delay_alu instid0(VALU_DEP_1) | instskip(NEXT) | instid1(VALU_DEP_1)
	v_sub_nc_u32_e32 v7, v6, v7
	v_subrev_nc_u32_e32 v9, s34, v7
	v_cmp_le_u32_e32 vcc_lo, s34, v7
	s_delay_alu instid0(VALU_DEP_2) | instskip(NEXT) | instid1(VALU_DEP_1)
	v_dual_cndmask_b32 v7, v7, v9 :: v_dual_add_nc_u32 v8, 1, v3
	v_cndmask_b32_e32 v3, v3, v8, vcc_lo
	s_delay_alu instid0(VALU_DEP_2) | instskip(NEXT) | instid1(VALU_DEP_2)
	v_cmp_le_u32_e32 vcc_lo, s34, v7
	v_add_nc_u32_e32 v8, 1, v3
	s_delay_alu instid0(VALU_DEP_1) | instskip(SKIP_1) | instid1(SALU_CYCLE_1)
	v_cndmask_b32_e32 v8, v3, v8, vcc_lo
	s_or_b32 exec_lo, exec_lo, s0
	s_and_not1_b32 vcc_lo, exec_lo, s33
	s_cbranch_vccnz .LBB0_2
.LBB0_16:                               ;   in Loop: Header=BB0_3 Depth=1
	s_delay_alu instid0(VALU_DEP_1) | instskip(SKIP_3) | instid1(VALU_DEP_2)
	v_mul_lo_u32 v3, v8, s34
	v_mul_lo_u32 v9, v6, s30
	s_mov_b32 s43, 0
	s_mov_b32 s45, 0
	v_sub_nc_u32_e32 v11, v6, v3
	v_mul_u64_e32 v[6:7], s[28:29], v[4:5]
	s_delay_alu instid0(VALU_DEP_3) | instskip(NEXT) | instid1(VALU_DEP_3)
	v_sub_nc_u32_e32 v4, v4, v9
	v_mul_lo_u32 v3, s13, v11
	v_mad_u32 v9, s19, v8, v11
	s_delay_alu instid0(VALU_DEP_3) | instskip(NEXT) | instid1(VALU_DEP_3)
	v_mul_lo_u32 v5, s14, v4
	v_subrev_nc_u32_e32 v3, s10, v3
	s_delay_alu instid0(VALU_DEP_3) | instskip(NEXT) | instid1(VALU_DEP_3)
	v_mad_u32 v9, v9, s24, v4
	v_subrev_nc_u32_e32 v11, s11, v5
	s_delay_alu instid0(VALU_DEP_3) | instskip(NEXT) | instid1(VALU_DEP_1)
	v_mad_u32 v8, s4, v8, v3
	v_mad_u32 v8, v8, s5, v11
	v_sub_nc_u64_e32 v[4:5], v[0:1], v[6:7]
	v_mul_lo_u32 v6, v9, s25
	s_delay_alu instid0(VALU_DEP_2) | instskip(NEXT) | instid1(VALU_DEP_3)
	v_mul_lo_u32 v14, s15, v4
	v_lshlrev_b64_e32 v[12:13], 2, v[4:5]
	v_mul_lo_u32 v8, v8, s6
	s_delay_alu instid0(VALU_DEP_4) | instskip(NEXT) | instid1(VALU_DEP_4)
	v_ashrrev_i32_e32 v7, 31, v6
	v_subrev_nc_u32_e32 v4, s12, v14
	s_delay_alu instid0(VALU_DEP_3) | instskip(NEXT) | instid1(VALU_DEP_3)
	v_dual_ashrrev_i32 v9, 31, v8 :: v_dual_bitop2_b32 v13, 3, v13 bitop3:0x40
	v_lshl_add_u64 v[6:7], v[6:7], 2, s[26:27]
	s_delay_alu instid0(VALU_DEP_3) | instskip(NEXT) | instid1(VALU_DEP_3)
	v_ashrrev_i32_e32 v5, 31, v4
	v_lshl_add_u64 v[8:9], v[8:9], 2, s[22:23]
	s_delay_alu instid0(VALU_DEP_3) | instskip(NEXT) | instid1(VALU_DEP_2)
	v_add_nc_u64_e32 v[6:7], v[6:7], v[12:13]
	v_lshl_add_u64 v[8:9], v[4:5], 2, v[8:9]
	s_branch .LBB0_18
.LBB0_17:                               ;   in Loop: Header=BB0_18 Depth=2
	s_add_co_i32 s45, s45, 1
	s_add_co_i32 s43, s43, s52
	s_cmp_eq_u32 s45, s7
	s_cbranch_scc1 .LBB0_2
.LBB0_18:                               ;   Parent Loop BB0_3 Depth=1
                                        ; =>  This Loop Header: Depth=2
                                        ;       Child Loop BB0_21 Depth 3
                                        ;         Child Loop BB0_24 Depth 4
	s_and_not1_b32 vcc_lo, exec_lo, s50
	s_cbranch_vccnz .LBB0_17
; %bb.19:                               ;   in Loop: Header=BB0_18 Depth=2
	v_mad_u32 v5, s45, s16, v3
	s_mov_b32 s46, 0
	s_mov_b32 s47, s43
	s_delay_alu instid0(VALU_DEP_1)
	v_cmp_lt_i32_e64 s0, -1, v5
	v_cmp_gt_i32_e64 s1, s4, v5
	s_branch .LBB0_21
.LBB0_20:                               ;   in Loop: Header=BB0_21 Depth=3
	s_add_co_i32 s46, s46, 1
	s_add_co_i32 s47, s47, s53
	s_cmp_eq_u32 s46, s8
	s_cbranch_scc1 .LBB0_17
.LBB0_21:                               ;   Parent Loop BB0_3 Depth=1
                                        ;     Parent Loop BB0_18 Depth=2
                                        ; =>    This Loop Header: Depth=3
                                        ;         Child Loop BB0_24 Depth 4
	s_and_not1_b32 vcc_lo, exec_lo, s51
	s_cbranch_vccnz .LBB0_20
; %bb.22:                               ;   in Loop: Header=BB0_21 Depth=3
	v_mad_u32 v5, s46, s17, v11
	s_mov_b32 s48, 0
	s_mov_b32 s55, s9
	s_delay_alu instid0(VALU_DEP_1)
	v_cmp_lt_i32_e64 s2, -1, v5
	v_cmp_gt_i32_e32 vcc_lo, s5, v5
	s_and_b32 s49, s0, s2
	s_branch .LBB0_24
.LBB0_23:                               ;   in Loop: Header=BB0_24 Depth=4
	s_wait_xcnt 0x0
	s_or_b32 exec_lo, exec_lo, s2
	s_wait_loadcnt 0x0
	global_store_b32 v[6:7], v5, off
	s_wait_xcnt 0x0
	v_add_nc_u64_e32 v[6:7], s[38:39], v[6:7]
	s_add_co_i32 s55, s55, -1
	s_add_co_i32 s48, s48, s18
	s_cmp_eq_u32 s55, 0
	s_cbranch_scc1 .LBB0_20
.LBB0_24:                               ;   Parent Loop BB0_3 Depth=1
                                        ;     Parent Loop BB0_18 Depth=2
                                        ;       Parent Loop BB0_21 Depth=3
                                        ; =>      This Inner Loop Header: Depth=4
	v_add_nc_u32_e32 v5, s48, v4
	s_delay_alu instid0(VALU_DEP_1)
	v_cmp_lt_i32_e64 s2, -1, v5
	s_and_b32 s56, s49, s2
	v_cmp_gt_i32_e64 s2, s6, v5
	s_and_b32 s56, s1, s56
	v_mov_b32_e32 v5, 0
	s_and_b32 s56, s56, vcc_lo
	s_delay_alu instid0(SALU_CYCLE_1) | instskip(NEXT) | instid1(SALU_CYCLE_1)
	s_and_b32 s56, s56, s2
	s_and_saveexec_b32 s2, s56
	s_cbranch_execz .LBB0_23
; %bb.25:                               ;   in Loop: Header=BB0_24 Depth=4
	s_add_co_i32 s56, s47, s48
	s_delay_alu instid0(SALU_CYCLE_1) | instskip(NEXT) | instid1(SALU_CYCLE_1)
	s_ashr_i32 s57, s56, 31
	v_lshl_add_u64 v[12:13], s[56:57], 2, v[8:9]
	global_load_b32 v5, v[12:13], off
	s_branch .LBB0_23
.LBB0_26:
	s_endpgm
	.section	.rodata,"a",@progbits
	.p2align	6, 0x0
	.amdhsa_kernel _Z14vol2col_kernelIfEvlPKT_iiiiiiiiiiiiiiiiiiPS0_
		.amdhsa_group_segment_fixed_size 0
		.amdhsa_private_segment_fixed_size 0
		.amdhsa_kernarg_size 352
		.amdhsa_user_sgpr_count 2
		.amdhsa_user_sgpr_dispatch_ptr 0
		.amdhsa_user_sgpr_queue_ptr 0
		.amdhsa_user_sgpr_kernarg_segment_ptr 1
		.amdhsa_user_sgpr_dispatch_id 0
		.amdhsa_user_sgpr_kernarg_preload_length 0
		.amdhsa_user_sgpr_kernarg_preload_offset 0
		.amdhsa_user_sgpr_private_segment_size 0
		.amdhsa_wavefront_size32 1
		.amdhsa_uses_dynamic_stack 0
		.amdhsa_enable_private_segment 0
		.amdhsa_system_sgpr_workgroup_id_x 1
		.amdhsa_system_sgpr_workgroup_id_y 0
		.amdhsa_system_sgpr_workgroup_id_z 0
		.amdhsa_system_sgpr_workgroup_info 0
		.amdhsa_system_vgpr_workitem_id 0
		.amdhsa_next_free_vgpr 24
		.amdhsa_next_free_sgpr 64
		.amdhsa_named_barrier_count 0
		.amdhsa_reserve_vcc 1
		.amdhsa_float_round_mode_32 0
		.amdhsa_float_round_mode_16_64 0
		.amdhsa_float_denorm_mode_32 3
		.amdhsa_float_denorm_mode_16_64 3
		.amdhsa_fp16_overflow 0
		.amdhsa_memory_ordered 1
		.amdhsa_forward_progress 1
		.amdhsa_inst_pref_size 24
		.amdhsa_round_robin_scheduling 0
		.amdhsa_exception_fp_ieee_invalid_op 0
		.amdhsa_exception_fp_denorm_src 0
		.amdhsa_exception_fp_ieee_div_zero 0
		.amdhsa_exception_fp_ieee_overflow 0
		.amdhsa_exception_fp_ieee_underflow 0
		.amdhsa_exception_fp_ieee_inexact 0
		.amdhsa_exception_int_div_zero 0
	.end_amdhsa_kernel
	.section	.text._Z14vol2col_kernelIfEvlPKT_iiiiiiiiiiiiiiiiiiPS0_,"axG",@progbits,_Z14vol2col_kernelIfEvlPKT_iiiiiiiiiiiiiiiiiiPS0_,comdat
.Lfunc_end0:
	.size	_Z14vol2col_kernelIfEvlPKT_iiiiiiiiiiiiiiiiiiPS0_, .Lfunc_end0-_Z14vol2col_kernelIfEvlPKT_iiiiiiiiiiiiiiiiiiPS0_
                                        ; -- End function
	.set _Z14vol2col_kernelIfEvlPKT_iiiiiiiiiiiiiiiiiiPS0_.num_vgpr, 24
	.set _Z14vol2col_kernelIfEvlPKT_iiiiiiiiiiiiiiiiiiPS0_.num_agpr, 0
	.set _Z14vol2col_kernelIfEvlPKT_iiiiiiiiiiiiiiiiiiPS0_.numbered_sgpr, 64
	.set _Z14vol2col_kernelIfEvlPKT_iiiiiiiiiiiiiiiiiiPS0_.num_named_barrier, 0
	.set _Z14vol2col_kernelIfEvlPKT_iiiiiiiiiiiiiiiiiiPS0_.private_seg_size, 0
	.set _Z14vol2col_kernelIfEvlPKT_iiiiiiiiiiiiiiiiiiPS0_.uses_vcc, 1
	.set _Z14vol2col_kernelIfEvlPKT_iiiiiiiiiiiiiiiiiiPS0_.uses_flat_scratch, 0
	.set _Z14vol2col_kernelIfEvlPKT_iiiiiiiiiiiiiiiiiiPS0_.has_dyn_sized_stack, 0
	.set _Z14vol2col_kernelIfEvlPKT_iiiiiiiiiiiiiiiiiiPS0_.has_recursion, 0
	.set _Z14vol2col_kernelIfEvlPKT_iiiiiiiiiiiiiiiiiiPS0_.has_indirect_call, 0
	.section	.AMDGPU.csdata,"",@progbits
; Kernel info:
; codeLenInByte = 3028
; TotalNumSgprs: 66
; NumVgprs: 24
; ScratchSize: 0
; MemoryBound: 0
; FloatMode: 240
; IeeeMode: 1
; LDSByteSize: 0 bytes/workgroup (compile time only)
; SGPRBlocks: 0
; VGPRBlocks: 1
; NumSGPRsForWavesPerEU: 66
; NumVGPRsForWavesPerEU: 24
; NamedBarCnt: 0
; Occupancy: 16
; WaveLimiterHint : 0
; COMPUTE_PGM_RSRC2:SCRATCH_EN: 0
; COMPUTE_PGM_RSRC2:USER_SGPR: 2
; COMPUTE_PGM_RSRC2:TRAP_HANDLER: 0
; COMPUTE_PGM_RSRC2:TGID_X_EN: 1
; COMPUTE_PGM_RSRC2:TGID_Y_EN: 0
; COMPUTE_PGM_RSRC2:TGID_Z_EN: 0
; COMPUTE_PGM_RSRC2:TIDIG_COMP_CNT: 0
	.section	.text._Z14col2vol_kernelIffEvlPKT_iiiiiiiiiiiiiiiiiiPS0_,"axG",@progbits,_Z14col2vol_kernelIffEvlPKT_iiiiiiiiiiiiiiiiiiPS0_,comdat
	.protected	_Z14col2vol_kernelIffEvlPKT_iiiiiiiiiiiiiiiiiiPS0_ ; -- Begin function _Z14col2vol_kernelIffEvlPKT_iiiiiiiiiiiiiiiiiiPS0_
	.globl	_Z14col2vol_kernelIffEvlPKT_iiiiiiiiiiiiiiiiiiPS0_
	.p2align	8
	.type	_Z14col2vol_kernelIffEvlPKT_iiiiiiiiiiiiiiiiiiPS0_,@function
_Z14col2vol_kernelIffEvlPKT_iiiiiiiiiiiiiiiiiiPS0_: ; @_Z14col2vol_kernelIffEvlPKT_iiiiiiiiiiiiiiiiiiPS0_
; %bb.0:
	s_clause 0x1
	s_load_b32 s2, s[0:1], 0x6c
	s_load_b128 s[20:23], s[0:1], 0x0
	s_bfe_u32 s3, ttmp6, 0x4000c
	s_and_b32 s4, ttmp6, 15
	s_add_co_i32 s3, s3, 1
	s_getreg_b32 s5, hwreg(HW_REG_IB_STS2, 6, 4)
	s_mul_i32 s3, ttmp9, s3
	v_mov_b32_e32 v2, 0
	s_add_co_i32 s4, s4, s3
	s_mov_b32 s29, 0
	s_delay_alu instid0(VALU_DEP_1) | instskip(SKIP_4) | instid1(SALU_CYCLE_1)
	v_mov_b32_e32 v1, v2
	s_wait_kmcnt 0x0
	s_and_b32 s2, s2, 0xffff
	s_cmp_eq_u32 s5, 0
	s_cselect_b32 s3, ttmp9, s4
	v_mad_u32 v0, s3, s2, v0
	s_mov_b32 s3, exec_lo
	s_delay_alu instid0(VALU_DEP_1)
	v_cmpx_gt_i64_e64 s[20:21], v[0:1]
	s_cbranch_execz .LBB1_55
; %bb.1:
	s_load_b512 s[4:19], s[0:1], 0x10
	s_add_nc_u64 s[30:31], s[0:1], 0x60
	s_load_b128 s[24:27], s[0:1], 0x50
	s_load_b32 s3, s[30:31], 0x0
	s_mov_b32 s45, s29
	s_mov_b32 s47, s29
	s_mov_b64 s[50:51], 0xffffffff
	s_mov_b32 s49, s29
	s_mov_b32 s76, 0
	s_wait_kmcnt 0x0
	s_mul_i32 s0, s5, s6
	s_abs_i32 s33, s15
	s_mul_i32 s40, s0, s4
	s_cvt_f32_u32 s0, s33
	s_abs_i32 s69, s14
	s_add_co_i32 s28, s8, -1
	s_ashr_i32 s43, s8, 31
	v_rcp_iflag_f32_e32 v3, s0
	s_mov_b32 s42, s8
	s_cvt_f32_u32 s8, s69
	s_abs_i32 s72, s13
	s_add_co_i32 s1, s9, -1
	s_add_co_i32 s38, s7, -1
	s_mul_i32 s61, s17, s28
	v_nop
	v_readfirstlane_b32 s0, v3
	v_rcp_iflag_f32_e32 v3, s8
	s_cvt_f32_u32 s28, s72
	s_ashr_i32 s37, s16, 31
	s_mov_b32 s36, s16
	s_ashr_i32 s39, s17, 31
	s_mul_i32 s60, s18, s1
	s_mul_i32 s62, s16, s38
	s_mov_b32 s38, s17
	s_ashr_i32 s17, s18, 31
	s_mov_b32 s16, s18
	s_ashr_i32 s18, s9, 31
	s_mov_b32 s66, s9
	s_mul_f32 s9, s0, 0x4f7ffffe
	v_rcp_iflag_f32_e32 v4, s28
	v_nop
	v_readfirstlane_b32 s28, v3
	s_mov_b32 s30, s6
	s_mul_i32 s8, s3, s2
	s_cvt_u32_f32 s2, s9
	s_sub_co_i32 s3, 0, s33
	v_cvt_f32_u32_e32 v3, s30
	s_mul_f32 s28, s28, 0x4f7ffffe
	s_mul_i32 s3, s3, s2
	v_readfirstlane_b32 s46, v4
	s_mul_hi_u32 s3, s2, s3
	v_rcp_iflag_f32_e32 v3, v3
	s_add_co_i32 s44, s2, s3
	s_cvt_u32_f32 s2, s28
	s_sub_co_i32 s3, 0, s69
	s_mul_f32 s28, s46, 0x4f7ffffe
	s_ashr_i32 s31, s6, 31
	s_mul_i32 s3, s3, s2
	v_nop
	v_mul_f32_e32 v3, 0x4f7ffffe, v3
	s_mul_hi_u32 s3, s2, s3
	s_cvt_u32_f32 s28, s28
	s_add_co_i32 s46, s2, s3
	s_sub_co_i32 s2, 0, s72
	v_cvt_u32_f32_e32 v30, v3
	s_mul_i32 s2, s2, s28
	s_ashr_i32 s1, s25, 31
	s_mov_b32 s0, s25
	s_mul_hi_u32 s2, s28, s2
	s_ashr_i32 s35, s5, 31
	s_mov_b32 s34, s5
	s_ashr_i32 s5, s4, 31
	s_ashr_i32 s41, s40, 31
	s_not_b32 s63, s61
	s_not_b32 s64, s62
	;; [unrolled: 1-line block ×3, first 2 shown]
	s_ashr_i32 s67, s19, 31
	s_mov_b32 s68, s19
	s_ashr_i32 s70, s24, 31
	s_mov_b32 s71, s24
	s_mov_b32 s9, s29
	s_ashr_i32 s73, s15, 31
	s_ashr_i32 s74, s14, 31
	;; [unrolled: 1-line block ×3, first 2 shown]
	s_add_co_i32 s48, s28, s2
	s_lshl_b64 s[52:53], s[0:1], 2
	s_ashr_i32 s54, s31, 31
	s_branch .LBB1_4
.LBB1_2:                                ;   in Loop: Header=BB1_4 Depth=1
	s_or_b32 exec_lo, exec_lo, s77
.LBB1_3:                                ;   in Loop: Header=BB1_4 Depth=1
	s_delay_alu instid0(SALU_CYCLE_1)
	s_or_b32 exec_lo, exec_lo, s55
	v_lshl_add_u64 v[4:5], v[0:1], 2, s[26:27]
	v_add_nc_u64_e32 v[0:1], s[8:9], v[0:1]
	global_store_b32 v[4:5], v9, off
	v_cmp_le_i64_e32 vcc_lo, s[20:21], v[0:1]
	s_or_b32 s76, vcc_lo, s76
	s_wait_xcnt 0x0
	s_and_not1_b32 exec_lo, exec_lo, s76
	s_cbranch_execz .LBB1_55
.LBB1_4:                                ; =>This Loop Header: Depth=1
                                        ;     Child Loop BB1_30 Depth 2
                                        ;       Child Loop BB1_34 Depth 3
                                        ;         Child Loop BB1_43 Depth 4
	v_dual_ashrrev_i32 v6, 31, v1 :: v_dual_bitop2_b32 v3, s31, v1 bitop3:0x54
                                        ; implicit-def: $vgpr4_vgpr5
	s_mov_b32 s0, exec_lo
	s_delay_alu instid0(VALU_DEP_1)
	v_cmpx_ne_u64_e32 0, v[2:3]
	s_xor_b32 s1, exec_lo, s0
	s_cbranch_execz .LBB1_6
; %bb.5:                                ;   in Loop: Header=BB1_4 Depth=1
	s_mov_b32 s55, s54
	v_dual_mov_b32 v7, v6 :: v_dual_mov_b32 v9, v2
	s_add_nc_u64 s[2:3], s[30:31], s[54:55]
	v_mov_b32_e32 v13, v2
	s_xor_b64 s[2:3], s[2:3], s[54:55]
	s_delay_alu instid0(VALU_DEP_2) | instskip(SKIP_4) | instid1(SALU_CYCLE_1)
	v_add_nc_u64_e32 v[4:5], v[0:1], v[6:7]
	s_cvt_f32_u32 s0, s2
	s_cvt_f32_u32 s28, s3
	s_sub_nc_u64 s[58:59], 0, s[2:3]
	v_mov_b32_e32 v17, v2
	s_fmamk_f32 s0, s28, 0x4f800000, s0
	s_delay_alu instid0(VALU_DEP_2) | instskip(SKIP_1) | instid1(SALU_CYCLE_1)
	v_xor_b32_e32 v8, v4, v6
	v_xor_b32_e32 v12, v5, v6
	v_s_rcp_f32 s0, s0
	s_delay_alu instid0(TRANS32_DEP_1) | instskip(NEXT) | instid1(SALU_CYCLE_3)
	s_mul_f32 s0, s0, 0x5f7ffffc
	s_mul_f32 s28, s0, 0x2f800000
	s_delay_alu instid0(SALU_CYCLE_3) | instskip(NEXT) | instid1(SALU_CYCLE_3)
	s_trunc_f32 s28, s28
	s_fmamk_f32 s0, s28, 0xcf800000, s0
	s_cvt_u32_f32 s57, s28
	s_delay_alu instid0(SALU_CYCLE_2) | instskip(NEXT) | instid1(SALU_CYCLE_3)
	s_cvt_u32_f32 s56, s0
	s_mul_u64 s[78:79], s[58:59], s[56:57]
	s_delay_alu instid0(SALU_CYCLE_1)
	s_mul_hi_u32 s81, s56, s79
	s_mul_i32 s80, s56, s79
	s_mul_hi_u32 s28, s56, s78
	s_mul_i32 s55, s57, s78
	s_add_nc_u64 s[80:81], s[28:29], s[80:81]
	s_mul_hi_u32 s0, s57, s78
	s_mul_hi_u32 s77, s57, s79
	s_add_co_u32 s28, s80, s55
	s_add_co_ci_u32 s28, s81, s0
	s_mul_i32 s78, s57, s79
	s_add_co_ci_u32 s79, s77, 0
	s_delay_alu instid0(SALU_CYCLE_1) | instskip(NEXT) | instid1(SALU_CYCLE_1)
	s_add_nc_u64 s[78:79], s[28:29], s[78:79]
	s_add_co_u32 s56, s56, s78
	s_cselect_b32 s0, -1, 0
	s_delay_alu instid0(SALU_CYCLE_1) | instskip(SKIP_1) | instid1(SALU_CYCLE_1)
	s_cmp_lg_u32 s0, 0
	s_add_co_ci_u32 s57, s57, s79
	s_mul_u64 s[58:59], s[58:59], s[56:57]
	s_delay_alu instid0(SALU_CYCLE_1)
	s_mul_hi_u32 s79, s56, s59
	s_mul_i32 s78, s56, s59
	s_mul_hi_u32 s28, s56, s58
	s_mul_i32 s55, s57, s58
	s_add_nc_u64 s[78:79], s[28:29], s[78:79]
	s_mul_hi_u32 s0, s57, s58
	s_mul_hi_u32 s77, s57, s59
	s_add_co_u32 s28, s78, s55
	s_add_co_ci_u32 s28, s79, s0
	s_mul_i32 s58, s57, s59
	s_add_co_ci_u32 s59, s77, 0
	s_delay_alu instid0(SALU_CYCLE_1) | instskip(NEXT) | instid1(SALU_CYCLE_1)
	s_add_nc_u64 s[58:59], s[28:29], s[58:59]
	s_add_co_u32 s0, s56, s58
	s_cselect_b32 s28, -1, 0
	v_nop
	v_mul_hi_u32 v16, v8, s0
	s_cmp_lg_u32 s28, 0
	s_add_co_ci_u32 s28, s57, s59
	s_and_b64 s[56:57], s[0:1], s[50:51]
	v_mul_u64_e32 v[10:11], s[28:29], v[8:9]
	v_mul_u64_e32 v[4:5], s[56:57], v[12:13]
	;; [unrolled: 1-line block ×3, first 2 shown]
	s_delay_alu instid0(VALU_DEP_3) | instskip(NEXT) | instid1(VALU_DEP_1)
	v_add_nc_u64_e32 v[10:11], v[16:17], v[10:11]
	v_add_co_u32 v3, vcc_lo, v10, v4
	s_delay_alu instid0(VALU_DEP_2) | instskip(NEXT) | instid1(VALU_DEP_4)
	v_add_co_ci_u32_e32 v16, vcc_lo, v11, v5, vcc_lo
	v_add_co_ci_u32_e32 v15, vcc_lo, 0, v15, vcc_lo
	s_delay_alu instid0(VALU_DEP_1) | instskip(NEXT) | instid1(VALU_DEP_1)
	v_add_nc_u64_e32 v[4:5], v[16:17], v[14:15]
	v_mul_u64_e32 v[10:11], s[2:3], v[4:5]
	s_delay_alu instid0(VALU_DEP_1) | instskip(NEXT) | instid1(VALU_DEP_2)
	v_sub_nc_u32_e32 v3, v12, v11
	v_sub_co_u32 v7, vcc_lo, v8, v10
	s_delay_alu instid0(VALU_DEP_1) | instskip(NEXT) | instid1(VALU_DEP_3)
	v_sub_co_ci_u32_e64 v12, null, v12, v11, vcc_lo
	v_subrev_co_ci_u32_e64 v3, null, s3, v3, vcc_lo
	s_delay_alu instid0(VALU_DEP_3) | instskip(SKIP_1) | instid1(VALU_DEP_3)
	v_sub_co_u32 v8, s0, v7, s2
	v_add_nc_u64_e32 v[10:11], 1, v[4:5]
	v_subrev_co_ci_u32_e64 v3, null, 0, v3, s0
	s_delay_alu instid0(VALU_DEP_3) | instskip(SKIP_1) | instid1(VALU_DEP_3)
	v_cmp_le_u32_e32 vcc_lo, s2, v8
	v_cndmask_b32_e64 v8, 0, -1, vcc_lo
	v_cmp_le_u32_e32 vcc_lo, s3, v3
	v_cndmask_b32_e64 v9, 0, -1, vcc_lo
	;; [unrolled: 2-line block ×4, first 2 shown]
	v_cmp_eq_u32_e32 vcc_lo, s3, v3
	v_cndmask_b32_e32 v3, v9, v8, vcc_lo
	v_cmp_eq_u32_e32 vcc_lo, s3, v12
	v_add_nc_u64_e32 v[8:9], 2, v[4:5]
	v_cndmask_b32_e32 v7, v13, v7, vcc_lo
	s_delay_alu instid0(VALU_DEP_4) | instskip(NEXT) | instid1(VALU_DEP_3)
	v_cmp_ne_u32_e32 vcc_lo, 0, v3
	v_cndmask_b32_e32 v3, v11, v9, vcc_lo
	s_delay_alu instid0(VALU_DEP_3) | instskip(SKIP_1) | instid1(VALU_DEP_1)
	v_cmp_ne_u32_e64 s0, 0, v7
	v_dual_cndmask_b32 v7, v10, v8, vcc_lo :: v_dual_bitop2_b32 v8, s54, v6 bitop3:0x14
	v_dual_cndmask_b32 v3, v5, v3, s0 :: v_dual_mov_b32 v9, v8
	s_delay_alu instid0(VALU_DEP_1) | instskip(NEXT) | instid1(VALU_DEP_1)
	v_dual_cndmask_b32 v4, v4, v7, s0 :: v_dual_bitop2_b32 v5, v3, v8 bitop3:0x14
	v_xor_b32_e32 v4, v4, v8
	s_delay_alu instid0(VALU_DEP_1)
	v_sub_nc_u64_e32 v[4:5], v[4:5], v[8:9]
.LBB1_6:                                ;   in Loop: Header=BB1_4 Depth=1
	s_and_not1_saveexec_b32 s0, s1
	s_cbranch_execz .LBB1_8
; %bb.7:                                ;   in Loop: Header=BB1_4 Depth=1
	s_sub_co_i32 s1, 0, s30
	s_delay_alu instid0(SALU_CYCLE_1) | instskip(NEXT) | instid1(VALU_DEP_1)
	v_mul_lo_u32 v3, s1, v30
	v_mul_hi_u32 v3, v30, v3
	s_delay_alu instid0(VALU_DEP_1) | instskip(NEXT) | instid1(VALU_DEP_1)
	v_add_nc_u32_e32 v3, v30, v3
	v_mul_hi_u32 v3, v0, v3
	s_delay_alu instid0(VALU_DEP_1) | instskip(NEXT) | instid1(VALU_DEP_1)
	v_mul_lo_u32 v4, v3, s30
	v_dual_add_nc_u32 v5, 1, v3 :: v_dual_sub_nc_u32 v4, v0, v4
	s_delay_alu instid0(VALU_DEP_1) | instskip(SKIP_1) | instid1(VALU_DEP_2)
	v_subrev_nc_u32_e32 v7, s30, v4
	v_cmp_le_u32_e32 vcc_lo, s30, v4
	v_dual_cndmask_b32 v4, v4, v7 :: v_dual_cndmask_b32 v3, v3, v5
	s_delay_alu instid0(VALU_DEP_1) | instskip(NEXT) | instid1(VALU_DEP_2)
	v_cmp_le_u32_e32 vcc_lo, s30, v4
	v_add_nc_u32_e32 v5, 1, v3
	s_delay_alu instid0(VALU_DEP_1)
	v_dual_cndmask_b32 v4, v3, v5 :: v_dual_mov_b32 v5, v2
.LBB1_8:                                ;   in Loop: Header=BB1_4 Depth=1
	s_or_b32 exec_lo, exec_lo, s0
	s_delay_alu instid0(VALU_DEP_1) | instskip(SKIP_1) | instid1(VALU_DEP_1)
	v_or_b32_e32 v3, s35, v5
                                        ; implicit-def: $vgpr10_vgpr11
	s_mov_b32 s0, exec_lo
	v_cmpx_ne_u64_e32 0, v[2:3]
	s_xor_b32 s1, exec_lo, s0
	s_cbranch_execz .LBB1_10
; %bb.9:                                ;   in Loop: Header=BB1_4 Depth=1
	s_ashr_i32 s2, s35, 31
	v_dual_mov_b32 v13, v2 :: v_dual_ashrrev_i32 v8, 31, v5
	s_mov_b32 s3, s2
	s_delay_alu instid0(SALU_CYCLE_1) | instskip(NEXT) | instid1(VALU_DEP_1)
	s_add_nc_u64 s[56:57], s[34:35], s[2:3]
	v_mov_b32_e32 v9, v8
	s_xor_b64 s[56:57], s[56:57], s[2:3]
	s_delay_alu instid0(SALU_CYCLE_1)
	s_cvt_f32_u32 s0, s56
	s_cvt_f32_u32 s3, s57
	s_sub_nc_u64 s[78:79], 0, s[56:57]
	v_add_nc_u64_e32 v[10:11], v[4:5], v[8:9]
	v_mov_b32_e32 v17, v2
	s_fmamk_f32 s0, s3, 0x4f800000, s0
	s_delay_alu instid0(SALU_CYCLE_3) | instskip(NEXT) | instid1(VALU_DEP_2)
	v_s_rcp_f32 s0, s0
	v_xor_b32_e32 v12, v10, v8
	s_delay_alu instid0(VALU_DEP_3) | instskip(SKIP_1) | instid1(TRANS32_DEP_1)
	v_dual_mov_b32 v21, v2 :: v_dual_bitop2_b32 v16, v11, v8 bitop3:0x14
	v_xor_b32_e32 v8, s2, v8
	s_mul_f32 s0, s0, 0x5f7ffffc
	s_delay_alu instid0(SALU_CYCLE_3) | instskip(NEXT) | instid1(SALU_CYCLE_3)
	s_mul_f32 s3, s0, 0x2f800000
	s_trunc_f32 s3, s3
	s_delay_alu instid0(SALU_CYCLE_3) | instskip(SKIP_1) | instid1(SALU_CYCLE_2)
	s_fmamk_f32 s0, s3, 0xcf800000, s0
	s_cvt_u32_f32 s59, s3
	s_cvt_u32_f32 s58, s0
	s_delay_alu instid0(SALU_CYCLE_3) | instskip(NEXT) | instid1(SALU_CYCLE_1)
	s_mul_u64 s[80:81], s[78:79], s[58:59]
	s_mul_hi_u32 s83, s58, s81
	s_mul_i32 s82, s58, s81
	s_mul_hi_u32 s28, s58, s80
	s_mul_i32 s3, s59, s80
	s_add_nc_u64 s[82:83], s[28:29], s[82:83]
	s_mul_hi_u32 s0, s59, s80
	s_mul_hi_u32 s55, s59, s81
	s_add_co_u32 s3, s82, s3
	s_add_co_ci_u32 s28, s83, s0
	s_mul_i32 s80, s59, s81
	s_add_co_ci_u32 s81, s55, 0
	s_delay_alu instid0(SALU_CYCLE_1) | instskip(NEXT) | instid1(SALU_CYCLE_1)
	s_add_nc_u64 s[80:81], s[28:29], s[80:81]
	s_add_co_u32 s58, s58, s80
	s_cselect_b32 s0, -1, 0
	s_delay_alu instid0(SALU_CYCLE_1) | instskip(SKIP_1) | instid1(SALU_CYCLE_1)
	s_cmp_lg_u32 s0, 0
	s_add_co_ci_u32 s59, s59, s81
	s_mul_u64 s[78:79], s[78:79], s[58:59]
	s_delay_alu instid0(SALU_CYCLE_1)
	s_mul_hi_u32 s81, s58, s79
	s_mul_i32 s80, s58, s79
	s_mul_hi_u32 s28, s58, s78
	s_mul_i32 s3, s59, s78
	s_add_nc_u64 s[80:81], s[28:29], s[80:81]
	s_mul_hi_u32 s0, s59, s78
	s_mul_hi_u32 s55, s59, s79
	s_add_co_u32 s3, s80, s3
	s_add_co_ci_u32 s28, s81, s0
	s_mul_i32 s78, s59, s79
	s_add_co_ci_u32 s79, s55, 0
	s_delay_alu instid0(SALU_CYCLE_1) | instskip(NEXT) | instid1(SALU_CYCLE_1)
	s_add_nc_u64 s[78:79], s[28:29], s[78:79]
	s_add_co_u32 s0, s58, s78
	s_cselect_b32 s3, -1, 0
	v_mul_hi_u32 v20, v12, s0
	s_cmp_lg_u32 s3, 0
	s_add_co_ci_u32 s28, s59, s79
	s_and_b64 s[58:59], s[0:1], s[50:51]
	v_mul_u64_e32 v[14:15], s[28:29], v[12:13]
	v_mul_u64_e32 v[10:11], s[58:59], v[16:17]
	;; [unrolled: 1-line block ×3, first 2 shown]
	s_delay_alu instid0(VALU_DEP_3) | instskip(NEXT) | instid1(VALU_DEP_1)
	v_add_nc_u64_e32 v[14:15], v[20:21], v[14:15]
	v_add_co_u32 v3, vcc_lo, v14, v10
	s_delay_alu instid0(VALU_DEP_2) | instskip(NEXT) | instid1(VALU_DEP_4)
	v_add_co_ci_u32_e32 v20, vcc_lo, v15, v11, vcc_lo
	v_add_co_ci_u32_e32 v19, vcc_lo, 0, v19, vcc_lo
	s_delay_alu instid0(VALU_DEP_1) | instskip(NEXT) | instid1(VALU_DEP_1)
	v_add_nc_u64_e32 v[10:11], v[20:21], v[18:19]
	v_mul_u64_e32 v[14:15], s[56:57], v[10:11]
	s_delay_alu instid0(VALU_DEP_1) | instskip(NEXT) | instid1(VALU_DEP_2)
	v_sub_nc_u32_e32 v3, v16, v15
	v_sub_co_u32 v5, vcc_lo, v12, v14
	s_delay_alu instid0(VALU_DEP_1) | instskip(NEXT) | instid1(VALU_DEP_3)
	v_sub_co_ci_u32_e64 v9, null, v16, v15, vcc_lo
	v_subrev_co_ci_u32_e64 v3, null, s57, v3, vcc_lo
	s_delay_alu instid0(VALU_DEP_3) | instskip(SKIP_1) | instid1(VALU_DEP_3)
	v_sub_co_u32 v7, s0, v5, s56
	v_add_nc_u64_e32 v[14:15], 1, v[10:11]
	v_subrev_co_ci_u32_e64 v3, null, 0, v3, s0
	s_delay_alu instid0(VALU_DEP_3) | instskip(SKIP_1) | instid1(VALU_DEP_3)
	v_cmp_le_u32_e32 vcc_lo, s56, v7
	v_cndmask_b32_e64 v7, 0, -1, vcc_lo
	v_cmp_le_u32_e32 vcc_lo, s57, v3
	v_cndmask_b32_e64 v12, 0, -1, vcc_lo
	;; [unrolled: 2-line block ×4, first 2 shown]
	v_cmp_eq_u32_e32 vcc_lo, s57, v3
	v_cndmask_b32_e32 v3, v12, v7, vcc_lo
	v_cmp_eq_u32_e32 vcc_lo, s57, v9
	v_add_nc_u64_e32 v[12:13], 2, v[10:11]
	v_mov_b32_e32 v9, v8
	v_cndmask_b32_e32 v5, v16, v5, vcc_lo
	v_cmp_ne_u32_e32 vcc_lo, 0, v3
	s_delay_alu instid0(VALU_DEP_2) | instskip(SKIP_1) | instid1(VALU_DEP_1)
	v_cmp_ne_u32_e64 s0, 0, v5
	v_dual_cndmask_b32 v3, v15, v13, vcc_lo :: v_dual_cndmask_b32 v5, v14, v12, vcc_lo
	v_dual_cndmask_b32 v3, v11, v3, s0 :: v_dual_cndmask_b32 v5, v10, v5, s0
	s_delay_alu instid0(VALU_DEP_1) | instskip(NEXT) | instid1(VALU_DEP_2)
	v_xor_b32_e32 v11, v3, v8
	v_xor_b32_e32 v10, v5, v8
	s_delay_alu instid0(VALU_DEP_1)
	v_sub_nc_u64_e32 v[10:11], v[10:11], v[8:9]
.LBB1_10:                               ;   in Loop: Header=BB1_4 Depth=1
	s_and_not1_saveexec_b32 s0, s1
	s_cbranch_execz .LBB1_12
; %bb.11:                               ;   in Loop: Header=BB1_4 Depth=1
	v_cvt_f32_u32_e32 v3, s34
	s_sub_co_i32 s1, 0, s34
	v_mov_b32_e32 v11, v2
	s_delay_alu instid0(VALU_DEP_2) | instskip(SKIP_1) | instid1(TRANS32_DEP_1)
	v_rcp_iflag_f32_e32 v3, v3
	v_nop
	v_mul_f32_e32 v3, 0x4f7ffffe, v3
	s_delay_alu instid0(VALU_DEP_1) | instskip(NEXT) | instid1(VALU_DEP_1)
	v_cvt_u32_f32_e32 v3, v3
	v_mul_lo_u32 v5, s1, v3
	s_delay_alu instid0(VALU_DEP_1) | instskip(NEXT) | instid1(VALU_DEP_1)
	v_mul_hi_u32 v5, v3, v5
	v_add_nc_u32_e32 v3, v3, v5
	s_delay_alu instid0(VALU_DEP_1) | instskip(NEXT) | instid1(VALU_DEP_1)
	v_mul_hi_u32 v3, v4, v3
	v_mul_lo_u32 v5, v3, s34
	s_delay_alu instid0(VALU_DEP_1) | instskip(NEXT) | instid1(VALU_DEP_1)
	v_sub_nc_u32_e32 v5, v4, v5
	v_subrev_nc_u32_e32 v8, s34, v5
	v_cmp_le_u32_e32 vcc_lo, s34, v5
	s_delay_alu instid0(VALU_DEP_2) | instskip(NEXT) | instid1(VALU_DEP_1)
	v_dual_add_nc_u32 v7, 1, v3 :: v_dual_cndmask_b32 v5, v5, v8, vcc_lo
	v_cndmask_b32_e32 v3, v3, v7, vcc_lo
	s_delay_alu instid0(VALU_DEP_2) | instskip(NEXT) | instid1(VALU_DEP_2)
	v_cmp_le_u32_e32 vcc_lo, s34, v5
	v_add_nc_u32_e32 v7, 1, v3
	s_delay_alu instid0(VALU_DEP_1)
	v_cndmask_b32_e32 v10, v3, v7, vcc_lo
.LBB1_12:                               ;   in Loop: Header=BB1_4 Depth=1
	s_or_b32 exec_lo, exec_lo, s0
	s_delay_alu instid0(VALU_DEP_1) | instskip(SKIP_1) | instid1(VALU_DEP_1)
	v_or_b32_e32 v3, s5, v11
                                        ; implicit-def: $vgpr12_vgpr13
	s_mov_b32 s0, exec_lo
	v_cmpx_ne_u64_e32 0, v[2:3]
	s_xor_b32 s1, exec_lo, s0
	s_cbranch_execz .LBB1_14
; %bb.13:                               ;   in Loop: Header=BB1_4 Depth=1
	s_ashr_i32 s2, s5, 31
	v_dual_mov_b32 v15, v2 :: v_dual_ashrrev_i32 v8, 31, v11
	s_mov_b32 s3, s2
	v_mov_b32_e32 v19, v2
	s_add_nc_u64 s[56:57], s[4:5], s[2:3]
	s_delay_alu instid0(VALU_DEP_2)
	v_mov_b32_e32 v9, v8
	s_xor_b64 s[2:3], s[56:57], s[2:3]
	v_mov_b32_e32 v23, v2
	s_cvt_f32_u32 s0, s2
	s_cvt_f32_u32 s28, s3
	s_sub_nc_u64 s[58:59], 0, s[2:3]
	v_add_nc_u64_e32 v[12:13], v[10:11], v[8:9]
	s_delay_alu instid0(SALU_CYCLE_1) | instskip(NEXT) | instid1(SALU_CYCLE_3)
	s_fmamk_f32 s0, s28, 0x4f800000, s0
	v_s_rcp_f32 s0, s0
	s_delay_alu instid0(VALU_DEP_1) | instskip(NEXT) | instid1(VALU_DEP_2)
	v_xor_b32_e32 v14, v12, v8
	v_xor_b32_e32 v18, v13, v8
	s_delay_alu instid0(TRANS32_DEP_1) | instskip(NEXT) | instid1(SALU_CYCLE_3)
	s_mul_f32 s0, s0, 0x5f7ffffc
	s_mul_f32 s28, s0, 0x2f800000
	s_delay_alu instid0(SALU_CYCLE_3) | instskip(NEXT) | instid1(SALU_CYCLE_3)
	s_trunc_f32 s28, s28
	s_fmamk_f32 s0, s28, 0xcf800000, s0
	s_cvt_u32_f32 s57, s28
	s_delay_alu instid0(SALU_CYCLE_2) | instskip(NEXT) | instid1(SALU_CYCLE_3)
	s_cvt_u32_f32 s56, s0
	s_mul_u64 s[78:79], s[58:59], s[56:57]
	s_delay_alu instid0(SALU_CYCLE_1)
	s_mul_hi_u32 s81, s56, s79
	s_mul_i32 s80, s56, s79
	s_mul_hi_u32 s28, s56, s78
	s_mul_i32 s55, s57, s78
	s_add_nc_u64 s[80:81], s[28:29], s[80:81]
	s_mul_hi_u32 s0, s57, s78
	s_mul_hi_u32 s77, s57, s79
	s_add_co_u32 s28, s80, s55
	s_add_co_ci_u32 s28, s81, s0
	s_mul_i32 s78, s57, s79
	s_add_co_ci_u32 s79, s77, 0
	s_delay_alu instid0(SALU_CYCLE_1) | instskip(NEXT) | instid1(SALU_CYCLE_1)
	s_add_nc_u64 s[78:79], s[28:29], s[78:79]
	s_add_co_u32 s56, s56, s78
	s_cselect_b32 s0, -1, 0
	s_delay_alu instid0(SALU_CYCLE_1) | instskip(SKIP_1) | instid1(SALU_CYCLE_1)
	s_cmp_lg_u32 s0, 0
	s_add_co_ci_u32 s57, s57, s79
	s_mul_u64 s[58:59], s[58:59], s[56:57]
	s_delay_alu instid0(SALU_CYCLE_1)
	s_mul_hi_u32 s79, s56, s59
	s_mul_i32 s78, s56, s59
	s_mul_hi_u32 s28, s56, s58
	s_mul_i32 s55, s57, s58
	s_add_nc_u64 s[78:79], s[28:29], s[78:79]
	s_mul_hi_u32 s0, s57, s58
	s_mul_hi_u32 s77, s57, s59
	s_add_co_u32 s28, s78, s55
	s_add_co_ci_u32 s28, s79, s0
	s_mul_i32 s58, s57, s59
	s_add_co_ci_u32 s59, s77, 0
	s_delay_alu instid0(SALU_CYCLE_1) | instskip(NEXT) | instid1(SALU_CYCLE_1)
	s_add_nc_u64 s[58:59], s[28:29], s[58:59]
	s_add_co_u32 s0, s56, s58
	s_cselect_b32 s28, -1, 0
	v_mul_hi_u32 v22, v14, s0
	s_cmp_lg_u32 s28, 0
	s_add_co_ci_u32 s28, s57, s59
	s_and_b64 s[56:57], s[0:1], s[50:51]
	v_mul_u64_e32 v[16:17], s[28:29], v[14:15]
	v_mul_u64_e32 v[12:13], s[56:57], v[18:19]
	;; [unrolled: 1-line block ×3, first 2 shown]
	s_delay_alu instid0(VALU_DEP_3) | instskip(NEXT) | instid1(VALU_DEP_1)
	v_add_nc_u64_e32 v[16:17], v[22:23], v[16:17]
	v_add_co_u32 v3, vcc_lo, v16, v12
	s_delay_alu instid0(VALU_DEP_2) | instskip(NEXT) | instid1(VALU_DEP_4)
	v_add_co_ci_u32_e32 v22, vcc_lo, v17, v13, vcc_lo
	v_add_co_ci_u32_e32 v21, vcc_lo, 0, v21, vcc_lo
	s_delay_alu instid0(VALU_DEP_1) | instskip(NEXT) | instid1(VALU_DEP_1)
	v_add_nc_u64_e32 v[12:13], v[22:23], v[20:21]
	v_mul_u64_e32 v[12:13], s[2:3], v[12:13]
	s_delay_alu instid0(VALU_DEP_1) | instskip(NEXT) | instid1(VALU_DEP_2)
	v_sub_nc_u32_e32 v3, v18, v13
	v_sub_co_u32 v5, vcc_lo, v14, v12
	s_delay_alu instid0(VALU_DEP_1) | instskip(NEXT) | instid1(VALU_DEP_3)
	v_sub_co_ci_u32_e64 v7, null, v18, v13, vcc_lo
	v_subrev_co_ci_u32_e64 v3, null, s3, v3, vcc_lo
	s_delay_alu instid0(VALU_DEP_3) | instskip(SKIP_1) | instid1(VALU_DEP_3)
	v_sub_co_u32 v11, vcc_lo, v5, s2
	v_cmp_le_u32_e64 s0, s2, v5
	v_subrev_co_ci_u32_e64 v12, null, 0, v3, vcc_lo
	v_subrev_co_ci_u32_e64 v3, null, s3, v3, vcc_lo
	s_delay_alu instid0(VALU_DEP_3) | instskip(SKIP_2) | instid1(VALU_DEP_2)
	v_cndmask_b32_e64 v13, 0, -1, s0
	v_cmp_le_u32_e64 s0, s2, v11
	v_cmp_le_u32_e32 vcc_lo, s3, v7
	v_cndmask_b32_e64 v14, 0, -1, s0
	v_cmp_le_u32_e64 s0, s3, v12
	v_cndmask_b32_e64 v16, 0, -1, vcc_lo
	v_cmp_eq_u32_e32 vcc_lo, s3, v12
	s_delay_alu instid0(VALU_DEP_3) | instskip(SKIP_1) | instid1(VALU_DEP_2)
	v_cndmask_b32_e64 v15, 0, -1, s0
	v_cmp_eq_u32_e64 s0, s3, v7
	v_cndmask_b32_e32 v14, v15, v14, vcc_lo
	v_sub_co_u32 v15, vcc_lo, v11, s2
	s_delay_alu instid0(VALU_DEP_1) | instskip(NEXT) | instid1(VALU_DEP_3)
	v_subrev_co_ci_u32_e64 v3, null, 0, v3, vcc_lo
	v_cmp_ne_u32_e32 vcc_lo, 0, v14
	v_cndmask_b32_e64 v13, v16, v13, s0
	s_delay_alu instid0(VALU_DEP_3) | instskip(SKIP_1) | instid1(VALU_DEP_3)
	v_cndmask_b32_e32 v3, v12, v3, vcc_lo
	v_cndmask_b32_e32 v11, v11, v15, vcc_lo
	v_cmp_ne_u32_e32 vcc_lo, 0, v13
	s_delay_alu instid0(VALU_DEP_2) | instskip(NEXT) | instid1(VALU_DEP_1)
	v_cndmask_b32_e32 v5, v5, v11, vcc_lo
	v_dual_cndmask_b32 v3, v7, v3, vcc_lo :: v_dual_bitop2_b32 v12, v5, v8 bitop3:0x14
	s_delay_alu instid0(VALU_DEP_1) | instskip(NEXT) | instid1(VALU_DEP_1)
	v_xor_b32_e32 v13, v3, v8
	v_sub_nc_u64_e32 v[12:13], v[12:13], v[8:9]
.LBB1_14:                               ;   in Loop: Header=BB1_4 Depth=1
	s_and_not1_saveexec_b32 s0, s1
	s_cbranch_execz .LBB1_16
; %bb.15:                               ;   in Loop: Header=BB1_4 Depth=1
	v_cvt_f32_u32_e32 v3, s4
	s_sub_co_i32 s1, 0, s4
	s_delay_alu instid0(VALU_DEP_1) | instskip(SKIP_1) | instid1(TRANS32_DEP_1)
	v_rcp_iflag_f32_e32 v3, v3
	v_nop
	v_mul_f32_e32 v3, 0x4f7ffffe, v3
	s_delay_alu instid0(VALU_DEP_1) | instskip(NEXT) | instid1(VALU_DEP_1)
	v_cvt_u32_f32_e32 v3, v3
	v_mul_lo_u32 v5, s1, v3
	s_delay_alu instid0(VALU_DEP_1) | instskip(NEXT) | instid1(VALU_DEP_1)
	v_mul_hi_u32 v5, v3, v5
	v_add_nc_u32_e32 v3, v3, v5
	s_delay_alu instid0(VALU_DEP_1) | instskip(NEXT) | instid1(VALU_DEP_1)
	v_mul_hi_u32 v3, v10, v3
	v_mul_lo_u32 v3, v3, s4
	s_delay_alu instid0(VALU_DEP_1) | instskip(NEXT) | instid1(VALU_DEP_1)
	v_sub_nc_u32_e32 v3, v10, v3
	v_subrev_nc_u32_e32 v5, s4, v3
	v_cmp_le_u32_e32 vcc_lo, s4, v3
	s_delay_alu instid0(VALU_DEP_2) | instskip(NEXT) | instid1(VALU_DEP_1)
	v_cndmask_b32_e32 v3, v3, v5, vcc_lo
	v_subrev_nc_u32_e32 v5, s4, v3
	v_cmp_le_u32_e32 vcc_lo, s4, v3
	s_delay_alu instid0(VALU_DEP_2)
	v_cndmask_b32_e32 v12, v3, v5, vcc_lo
.LBB1_16:                               ;   in Loop: Header=BB1_4 Depth=1
	s_or_b32 exec_lo, exec_lo, s0
	v_or_b32_e32 v3, s41, v1
                                        ; implicit-def: $vgpr14_vgpr15
	s_mov_b32 s0, exec_lo
	s_delay_alu instid0(VALU_DEP_1)
	v_cmpx_ne_u64_e32 0, v[2:3]
	s_xor_b32 s1, exec_lo, s0
	s_cbranch_execz .LBB1_18
; %bb.17:                               ;   in Loop: Header=BB1_4 Depth=1
	s_ashr_i32 s2, s41, 31
	v_dual_mov_b32 v7, v6 :: v_dual_mov_b32 v15, v2
	s_mov_b32 s3, s2
	v_mov_b32_e32 v19, v2
	s_add_nc_u64 s[56:57], s[40:41], s[2:3]
	s_delay_alu instid0(VALU_DEP_2)
	v_add_nc_u64_e32 v[8:9], v[0:1], v[6:7]
	s_xor_b64 s[56:57], s[56:57], s[2:3]
	v_mov_b32_e32 v23, v2
	s_cvt_f32_u32 s0, s56
	s_cvt_f32_u32 s3, s57
	s_sub_nc_u64 s[78:79], 0, s[56:57]
	s_delay_alu instid0(VALU_DEP_2) | instskip(NEXT) | instid1(SALU_CYCLE_1)
	v_xor_b32_e32 v14, v8, v6
	s_fmamk_f32 s0, s3, 0x4f800000, s0
	v_xor_b32_e32 v18, v9, v6
	v_xor_b32_e32 v6, s2, v6
	s_delay_alu instid0(SALU_CYCLE_1) | instskip(NEXT) | instid1(TRANS32_DEP_1)
	v_s_rcp_f32 s0, s0
	s_mul_f32 s0, s0, 0x5f7ffffc
	s_delay_alu instid0(SALU_CYCLE_3) | instskip(NEXT) | instid1(SALU_CYCLE_3)
	s_mul_f32 s3, s0, 0x2f800000
	s_trunc_f32 s3, s3
	s_delay_alu instid0(SALU_CYCLE_3) | instskip(SKIP_1) | instid1(SALU_CYCLE_2)
	s_fmamk_f32 s0, s3, 0xcf800000, s0
	s_cvt_u32_f32 s59, s3
	s_cvt_u32_f32 s58, s0
	s_delay_alu instid0(SALU_CYCLE_3) | instskip(NEXT) | instid1(SALU_CYCLE_1)
	s_mul_u64 s[80:81], s[78:79], s[58:59]
	s_mul_hi_u32 s83, s58, s81
	s_mul_i32 s82, s58, s81
	s_mul_hi_u32 s28, s58, s80
	s_mul_i32 s3, s59, s80
	s_add_nc_u64 s[82:83], s[28:29], s[82:83]
	s_mul_hi_u32 s0, s59, s80
	s_mul_hi_u32 s55, s59, s81
	s_add_co_u32 s3, s82, s3
	s_add_co_ci_u32 s28, s83, s0
	s_mul_i32 s80, s59, s81
	s_add_co_ci_u32 s81, s55, 0
	s_delay_alu instid0(SALU_CYCLE_1) | instskip(NEXT) | instid1(SALU_CYCLE_1)
	s_add_nc_u64 s[80:81], s[28:29], s[80:81]
	s_add_co_u32 s58, s58, s80
	s_cselect_b32 s0, -1, 0
	s_delay_alu instid0(SALU_CYCLE_1) | instskip(SKIP_1) | instid1(SALU_CYCLE_1)
	s_cmp_lg_u32 s0, 0
	s_add_co_ci_u32 s59, s59, s81
	s_mul_u64 s[78:79], s[78:79], s[58:59]
	s_delay_alu instid0(SALU_CYCLE_1)
	s_mul_hi_u32 s81, s58, s79
	s_mul_i32 s80, s58, s79
	s_mul_hi_u32 s28, s58, s78
	s_mul_i32 s3, s59, s78
	s_add_nc_u64 s[80:81], s[28:29], s[80:81]
	s_mul_hi_u32 s0, s59, s78
	s_mul_hi_u32 s55, s59, s79
	s_add_co_u32 s3, s80, s3
	s_add_co_ci_u32 s28, s81, s0
	s_mul_i32 s78, s59, s79
	s_add_co_ci_u32 s79, s55, 0
	s_delay_alu instid0(SALU_CYCLE_1) | instskip(NEXT) | instid1(SALU_CYCLE_1)
	s_add_nc_u64 s[78:79], s[28:29], s[78:79]
	s_add_co_u32 s0, s58, s78
	s_cselect_b32 s3, -1, 0
	v_nop
	v_mul_hi_u32 v22, v14, s0
	s_cmp_lg_u32 s3, 0
	s_add_co_ci_u32 s28, s59, s79
	s_and_b64 s[58:59], s[0:1], s[50:51]
	v_mul_u64_e32 v[16:17], s[28:29], v[14:15]
	v_mul_u64_e32 v[8:9], s[58:59], v[18:19]
	;; [unrolled: 1-line block ×3, first 2 shown]
	s_delay_alu instid0(VALU_DEP_3) | instskip(NEXT) | instid1(VALU_DEP_1)
	v_add_nc_u64_e32 v[16:17], v[22:23], v[16:17]
	v_add_co_u32 v3, vcc_lo, v16, v8
	s_delay_alu instid0(VALU_DEP_2) | instskip(NEXT) | instid1(VALU_DEP_4)
	v_add_co_ci_u32_e32 v22, vcc_lo, v17, v9, vcc_lo
	v_add_co_ci_u32_e32 v21, vcc_lo, 0, v21, vcc_lo
	s_delay_alu instid0(VALU_DEP_1) | instskip(NEXT) | instid1(VALU_DEP_1)
	v_add_nc_u64_e32 v[8:9], v[22:23], v[20:21]
	v_mul_u64_e32 v[16:17], s[56:57], v[8:9]
	s_delay_alu instid0(VALU_DEP_1) | instskip(SKIP_1) | instid1(VALU_DEP_3)
	v_sub_co_u32 v5, vcc_lo, v14, v16
	v_add_nc_u64_e32 v[14:15], 2, v[8:9]
	v_sub_nc_u32_e32 v3, v18, v17
	v_sub_co_ci_u32_e64 v11, null, v18, v17, vcc_lo
	s_delay_alu instid0(VALU_DEP_4) | instskip(NEXT) | instid1(VALU_DEP_3)
	v_sub_co_u32 v7, s0, v5, s56
	v_subrev_co_ci_u32_e64 v3, null, s57, v3, vcc_lo
	v_add_nc_u64_e32 v[16:17], 1, v[8:9]
	s_delay_alu instid0(VALU_DEP_3) | instskip(NEXT) | instid1(VALU_DEP_3)
	v_cmp_le_u32_e32 vcc_lo, s56, v7
	v_subrev_co_ci_u32_e64 v3, null, 0, v3, s0
	v_cndmask_b32_e64 v7, 0, -1, vcc_lo
	s_delay_alu instid0(VALU_DEP_2)
	v_cmp_le_u32_e32 vcc_lo, s57, v3
	v_cndmask_b32_e64 v13, 0, -1, vcc_lo
	v_cmp_le_u32_e32 vcc_lo, s56, v5
	v_cndmask_b32_e64 v5, 0, -1, vcc_lo
	;; [unrolled: 2-line block ×3, first 2 shown]
	v_cmp_eq_u32_e32 vcc_lo, s57, v3
	v_cndmask_b32_e32 v3, v13, v7, vcc_lo
	v_cmp_eq_u32_e32 vcc_lo, s57, v11
	s_delay_alu instid0(VALU_DEP_4) | instskip(NEXT) | instid1(VALU_DEP_3)
	v_cndmask_b32_e32 v5, v18, v5, vcc_lo
	v_cmp_ne_u32_e32 vcc_lo, 0, v3
	s_delay_alu instid0(VALU_DEP_2) | instskip(SKIP_1) | instid1(VALU_DEP_1)
	v_cmp_ne_u32_e64 s0, 0, v5
	v_dual_cndmask_b32 v3, v17, v15, vcc_lo :: v_dual_cndmask_b32 v5, v16, v14, vcc_lo
	v_dual_cndmask_b32 v3, v9, v3, s0 :: v_dual_cndmask_b32 v5, v8, v5, s0
	s_delay_alu instid0(VALU_DEP_1) | instskip(NEXT) | instid1(VALU_DEP_2)
	v_dual_mov_b32 v7, v6 :: v_dual_bitop2_b32 v9, v3, v6 bitop3:0x14
	v_xor_b32_e32 v8, v5, v6
	s_delay_alu instid0(VALU_DEP_1)
	v_sub_nc_u64_e32 v[14:15], v[8:9], v[6:7]
.LBB1_18:                               ;   in Loop: Header=BB1_4 Depth=1
	s_and_not1_saveexec_b32 s0, s1
	s_cbranch_execz .LBB1_20
; %bb.19:                               ;   in Loop: Header=BB1_4 Depth=1
	v_cvt_f32_u32_e32 v3, s40
	s_sub_co_i32 s1, 0, s40
	s_delay_alu instid0(VALU_DEP_1) | instskip(SKIP_1) | instid1(TRANS32_DEP_1)
	v_rcp_iflag_f32_e32 v3, v3
	v_nop
	v_mul_f32_e32 v3, 0x4f7ffffe, v3
	s_delay_alu instid0(VALU_DEP_1) | instskip(NEXT) | instid1(VALU_DEP_1)
	v_cvt_u32_f32_e32 v3, v3
	v_mul_lo_u32 v5, s1, v3
	s_delay_alu instid0(VALU_DEP_1) | instskip(NEXT) | instid1(VALU_DEP_1)
	v_mul_hi_u32 v5, v3, v5
	v_add_nc_u32_e32 v3, v3, v5
	s_delay_alu instid0(VALU_DEP_1) | instskip(NEXT) | instid1(VALU_DEP_1)
	v_mul_hi_u32 v3, v0, v3
	v_mul_lo_u32 v5, v3, s40
	s_delay_alu instid0(VALU_DEP_1) | instskip(NEXT) | instid1(VALU_DEP_1)
	v_dual_add_nc_u32 v6, 1, v3 :: v_dual_sub_nc_u32 v5, v0, v5
	v_subrev_nc_u32_e32 v7, s40, v5
	v_cmp_le_u32_e32 vcc_lo, s40, v5
	s_delay_alu instid0(VALU_DEP_2) | instskip(NEXT) | instid1(VALU_DEP_1)
	v_dual_cndmask_b32 v5, v5, v7, vcc_lo :: v_dual_cndmask_b32 v3, v3, v6, vcc_lo
	v_cmp_le_u32_e32 vcc_lo, s40, v5
	s_delay_alu instid0(VALU_DEP_2) | instskip(NEXT) | instid1(VALU_DEP_1)
	v_add_nc_u32_e32 v6, 1, v3
	v_cndmask_b32_e32 v14, v3, v6, vcc_lo
.LBB1_20:                               ;   in Loop: Header=BB1_4 Depth=1
	s_or_b32 exec_lo, exec_lo, s0
	v_mul_lo_u32 v3, v4, s30
	s_mov_b32 s0, exec_lo
	v_dual_mov_b32 v6, 0 :: v_dual_mov_b32 v8, 0
	s_delay_alu instid0(VALU_DEP_2) | instskip(NEXT) | instid1(VALU_DEP_1)
	v_sub_nc_u32_e32 v3, v0, v3
	v_add_nc_u32_e32 v3, s12, v3
	s_delay_alu instid0(VALU_DEP_1)
	v_cmpx_lt_i32_e64 s60, v3
	s_cbranch_execz .LBB1_22
; %bb.21:                               ;   in Loop: Header=BB1_4 Depth=1
	v_dual_add_nc_u32 v5, s65, v3 :: v_dual_mov_b32 v9, v2
	s_delay_alu instid0(VALU_DEP_1) | instskip(NEXT) | instid1(VALU_DEP_1)
	v_sub_nc_u32_e32 v7, 0, v5
	v_dual_ashrrev_i32 v5, 31, v5 :: v_dual_max_i32 v8, v5, v7
	s_delay_alu instid0(VALU_DEP_1) | instskip(NEXT) | instid1(VALU_DEP_2)
	v_mul_u64_e32 v[16:17], s[44:45], v[8:9]
	v_xor_b32_e32 v5, s73, v5
	s_delay_alu instid0(VALU_DEP_2) | instskip(NEXT) | instid1(VALU_DEP_1)
	v_mul_lo_u32 v7, v17, s33
	v_dual_sub_nc_u32 v7, v8, v7 :: v_dual_add_nc_u32 v8, 1, v17
	s_delay_alu instid0(VALU_DEP_1) | instskip(SKIP_1) | instid1(VALU_DEP_2)
	v_subrev_nc_u32_e32 v9, s33, v7
	v_cmp_le_u32_e32 vcc_lo, s33, v7
	v_dual_cndmask_b32 v8, v17, v8 :: v_dual_cndmask_b32 v7, v7, v9
	s_delay_alu instid0(VALU_DEP_1) | instskip(NEXT) | instid1(VALU_DEP_2)
	v_add_nc_u32_e32 v9, 1, v8
	v_cmp_le_u32_e32 vcc_lo, s33, v7
	s_delay_alu instid0(VALU_DEP_2) | instskip(NEXT) | instid1(VALU_DEP_1)
	v_cndmask_b32_e32 v7, v8, v9, vcc_lo
	v_xor_b32_e32 v7, v7, v5
	s_delay_alu instid0(VALU_DEP_1) | instskip(NEXT) | instid1(VALU_DEP_1)
	v_sub_nc_u32_e32 v5, v7, v5
	v_add_nc_u32_e32 v8, 1, v5
.LBB1_22:                               ;   in Loop: Header=BB1_4 Depth=1
	s_or_b32 exec_lo, exec_lo, s0
	v_mul_lo_u32 v5, v10, s34
	s_mov_b32 s0, exec_lo
	s_delay_alu instid0(VALU_DEP_1) | instskip(NEXT) | instid1(VALU_DEP_1)
	v_sub_nc_u32_e32 v5, v4, v5
	v_add_nc_u32_e32 v31, s11, v5
	s_delay_alu instid0(VALU_DEP_1)
	v_cmpx_lt_i32_e64 s61, v31
	s_cbranch_execz .LBB1_24
; %bb.23:                               ;   in Loop: Header=BB1_4 Depth=1
	v_dual_add_nc_u32 v5, s63, v31 :: v_dual_mov_b32 v7, v2
	s_delay_alu instid0(VALU_DEP_1) | instskip(NEXT) | instid1(VALU_DEP_1)
	v_sub_nc_u32_e32 v6, 0, v5
	v_dual_ashrrev_i32 v5, 31, v5 :: v_dual_max_i32 v6, v5, v6
	s_delay_alu instid0(VALU_DEP_1) | instskip(NEXT) | instid1(VALU_DEP_2)
	v_mul_u64_e32 v[10:11], s[46:47], v[6:7]
	v_xor_b32_e32 v5, s74, v5
	s_delay_alu instid0(VALU_DEP_2) | instskip(NEXT) | instid1(VALU_DEP_1)
	v_mul_lo_u32 v7, v11, s69
	v_sub_nc_u32_e32 v6, v6, v7
	v_add_nc_u32_e32 v7, 1, v11
	s_delay_alu instid0(VALU_DEP_2) | instskip(SKIP_1) | instid1(VALU_DEP_2)
	v_subrev_nc_u32_e32 v9, s69, v6
	v_cmp_le_u32_e32 vcc_lo, s69, v6
	v_dual_cndmask_b32 v7, v11, v7 :: v_dual_cndmask_b32 v6, v6, v9
	s_delay_alu instid0(VALU_DEP_1) | instskip(NEXT) | instid1(VALU_DEP_2)
	v_add_nc_u32_e32 v9, 1, v7
	v_cmp_le_u32_e32 vcc_lo, s69, v6
	s_delay_alu instid0(VALU_DEP_2) | instskip(NEXT) | instid1(VALU_DEP_1)
	v_cndmask_b32_e32 v6, v7, v9, vcc_lo
	v_xor_b32_e32 v6, v6, v5
	s_delay_alu instid0(VALU_DEP_1) | instskip(NEXT) | instid1(VALU_DEP_1)
	v_sub_nc_u32_e32 v5, v6, v5
	v_add_nc_u32_e32 v6, 1, v5
.LBB1_24:                               ;   in Loop: Header=BB1_4 Depth=1
	s_or_b32 exec_lo, exec_lo, s0
	v_dual_mov_b32 v9, 0 :: v_dual_add_nc_u32 v32, s10, v12
	v_mov_b32_e32 v10, 0
	s_mov_b32 s0, exec_lo
	s_delay_alu instid0(VALU_DEP_2)
	v_cmpx_lt_i32_e64 s62, v32
	s_cbranch_execz .LBB1_26
; %bb.25:                               ;   in Loop: Header=BB1_4 Depth=1
	v_dual_add_nc_u32 v5, s64, v32 :: v_dual_mov_b32 v11, v2
	s_delay_alu instid0(VALU_DEP_1) | instskip(NEXT) | instid1(VALU_DEP_1)
	v_sub_nc_u32_e32 v7, 0, v5
	v_dual_ashrrev_i32 v5, 31, v5 :: v_dual_max_i32 v10, v5, v7
	s_delay_alu instid0(VALU_DEP_1) | instskip(NEXT) | instid1(VALU_DEP_1)
	v_mul_u64_e32 v[12:13], s[48:49], v[10:11]
	v_mul_lo_u32 v7, v13, s72
	s_delay_alu instid0(VALU_DEP_1) | instskip(NEXT) | instid1(VALU_DEP_1)
	v_dual_sub_nc_u32 v7, v10, v7 :: v_dual_add_nc_u32 v10, 1, v13
	v_subrev_nc_u32_e32 v11, s72, v7
	v_cmp_le_u32_e32 vcc_lo, s72, v7
	s_delay_alu instid0(VALU_DEP_2) | instskip(NEXT) | instid1(VALU_DEP_1)
	v_dual_cndmask_b32 v10, v13, v10 :: v_dual_cndmask_b32 v7, v7, v11
	v_add_nc_u32_e32 v11, 1, v10
	s_delay_alu instid0(VALU_DEP_2) | instskip(NEXT) | instid1(VALU_DEP_2)
	v_cmp_le_u32_e32 vcc_lo, s72, v7
	v_dual_cndmask_b32 v7, v10, v11, vcc_lo :: v_dual_bitop2_b32 v5, s75, v5 bitop3:0x14
	s_delay_alu instid0(VALU_DEP_1) | instskip(NEXT) | instid1(VALU_DEP_1)
	v_xor_b32_e32 v7, v7, v5
	v_sub_nc_u32_e32 v5, v7, v5
	s_delay_alu instid0(VALU_DEP_1)
	v_add_nc_u32_e32 v10, 1, v5
.LBB1_26:                               ;   in Loop: Header=BB1_4 Depth=1
	s_or_b32 exec_lo, exec_lo, s0
	v_dual_sub_nc_u32 v5, 0, v32 :: v_dual_mov_b32 v13, v2
	s_mov_b32 s55, exec_lo
	s_delay_alu instid0(VALU_DEP_1) | instskip(NEXT) | instid1(VALU_DEP_1)
	v_max_i32_e32 v12, v32, v5
	v_mul_u64_e32 v[16:17], s[48:49], v[12:13]
	s_delay_alu instid0(VALU_DEP_1) | instskip(NEXT) | instid1(VALU_DEP_1)
	v_mul_lo_u32 v5, v17, s72
	v_dual_sub_nc_u32 v5, v12, v5 :: v_dual_ashrrev_i32 v12, 31, v32
	s_delay_alu instid0(VALU_DEP_1) | instskip(SKIP_1) | instid1(VALU_DEP_3)
	v_subrev_nc_u32_e32 v11, s72, v5
	v_cmp_le_u32_e32 vcc_lo, s72, v5
	v_dual_add_nc_u32 v7, 1, v17 :: v_dual_bitop2_b32 v12, s75, v12 bitop3:0x14
	s_delay_alu instid0(VALU_DEP_3) | instskip(NEXT) | instid1(VALU_DEP_2)
	v_cndmask_b32_e32 v5, v5, v11, vcc_lo
	v_cndmask_b32_e32 v7, v17, v7, vcc_lo
	s_delay_alu instid0(VALU_DEP_2) | instskip(NEXT) | instid1(VALU_DEP_2)
	v_cmp_le_u32_e32 vcc_lo, s72, v5
	v_add_nc_u32_e32 v11, 1, v7
	s_delay_alu instid0(VALU_DEP_1) | instskip(NEXT) | instid1(VALU_DEP_1)
	v_cndmask_b32_e32 v5, v7, v11, vcc_lo
	v_xor_b32_e32 v5, v5, v12
	s_delay_alu instid0(VALU_DEP_1) | instskip(NEXT) | instid1(VALU_DEP_1)
	v_sub_nc_u32_e32 v5, v5, v12
	v_add_min_i32_e64 v33, v5, 1, s19
	s_delay_alu instid0(VALU_DEP_1)
	v_cmpx_lt_i32_e64 v10, v33
	s_cbranch_execz .LBB1_3
; %bb.27:                               ;   in Loop: Header=BB1_4 Depth=1
	v_dual_sub_nc_u32 v5, 0, v31 :: v_dual_mov_b32 v13, v2
	v_sub_nc_u32_e32 v7, 0, v3
	s_mov_b32 s77, 0
	s_delay_alu instid0(VALU_DEP_2) | instskip(NEXT) | instid1(VALU_DEP_2)
	v_dual_mov_b32 v17, v2 :: v_dual_max_i32 v12, v31, v5
	v_max_i32_e32 v16, v3, v7
	s_delay_alu instid0(VALU_DEP_2) | instskip(NEXT) | instid1(VALU_DEP_2)
	v_mul_u64_e32 v[18:19], s[46:47], v[12:13]
	v_mul_u64_e32 v[20:21], s[44:45], v[16:17]
	s_delay_alu instid0(VALU_DEP_2) | instskip(SKIP_1) | instid1(VALU_DEP_3)
	v_mul_lo_u32 v5, v19, s69
	v_ashrrev_i32_e32 v9, 31, v31
	v_mul_lo_u32 v7, v21, s33
	s_delay_alu instid0(VALU_DEP_3) | instskip(NEXT) | instid1(VALU_DEP_2)
	v_dual_add_nc_u32 v11, 1, v19 :: v_dual_sub_nc_u32 v5, v12, v5
	v_dual_add_nc_u32 v12, 1, v21 :: v_dual_sub_nc_u32 v7, v16, v7
	s_delay_alu instid0(VALU_DEP_4) | instskip(NEXT) | instid1(VALU_DEP_3)
	v_xor_b32_e32 v9, s74, v9
	v_cmp_le_u32_e32 vcc_lo, s69, v5
	v_subrev_nc_u32_e32 v13, s69, v5
	s_delay_alu instid0(VALU_DEP_4) | instskip(SKIP_2) | instid1(VALU_DEP_4)
	v_cmp_le_u32_e64 s0, s33, v7
	v_ashrrev_i32_e32 v3, 31, v3
	v_subrev_nc_u32_e32 v15, s33, v7
	v_dual_cndmask_b32 v11, v19, v11, vcc_lo :: v_dual_cndmask_b32 v5, v5, v13, vcc_lo
	s_delay_alu instid0(VALU_DEP_2) | instskip(NEXT) | instid1(VALU_DEP_2)
	v_dual_cndmask_b32 v12, v21, v12, s0 :: v_dual_cndmask_b32 v7, v7, v15, s0
	v_add_nc_u32_e32 v13, 1, v11
	s_delay_alu instid0(VALU_DEP_3) | instskip(NEXT) | instid1(VALU_DEP_3)
	v_cmp_le_u32_e32 vcc_lo, s69, v5
	v_dual_add_nc_u32 v15, 1, v12 :: v_dual_bitop2_b32 v3, s73, v3 bitop3:0x14
	s_delay_alu instid0(VALU_DEP_3) | instskip(SKIP_1) | instid1(VALU_DEP_2)
	v_cndmask_b32_e32 v5, v11, v13, vcc_lo
	v_mul_lo_u32 v13, s15, v8
	v_xor_b32_e32 v5, v5, v9
	v_cmp_le_u32_e32 vcc_lo, s33, v7
	v_cndmask_b32_e32 v7, v12, v15, vcc_lo
	v_mul_lo_u32 v12, s7, v14
	v_mul_lo_u32 v14, s6, v4
	s_delay_alu instid0(VALU_DEP_3) | instskip(SKIP_1) | instid1(VALU_DEP_2)
	v_dual_add_nc_u32 v4, s12, v0 :: v_dual_bitop2_b32 v11, v7, v3 bitop3:0x14
	v_dual_ashrrev_i32 v7, 31, v6 :: v_dual_sub_nc_u32 v5, v5, v9
	v_dual_ashrrev_i32 v9, 31, v8 :: v_dual_sub_nc_u32 v15, v4, v13
	s_delay_alu instid0(VALU_DEP_3) | instskip(NEXT) | instid1(VALU_DEP_3)
	v_dual_sub_nc_u32 v3, v11, v3 :: v_dual_ashrrev_i32 v11, 31, v10
	v_add_min_i32_e64 v34, v5, 1, s24
	s_delay_alu instid0(VALU_DEP_3) | instskip(SKIP_1) | instid1(VALU_DEP_4)
	v_lshl_add_u64 v[4:5], v[8:9], 2, s[22:23]
	v_ashrrev_i32_e32 v13, 31, v12
	v_add_min_i32_e64 v35, v3, 1, s25
	v_dual_mov_b32 v9, 0 :: v_dual_sub_nc_u32 v36, v15, v14
	v_cmp_lt_i32_e64 s0, v6, v34
	s_delay_alu instid0(VALU_DEP_3)
	v_cmp_lt_i32_e64 s1, v8, v35
	s_branch .LBB1_30
.LBB1_28:                               ;   in Loop: Header=BB1_30 Depth=2
	s_or_b32 exec_lo, exec_lo, s79
.LBB1_29:                               ;   in Loop: Header=BB1_30 Depth=2
	s_delay_alu instid0(SALU_CYCLE_1) | instskip(SKIP_1) | instid1(VALU_DEP_1)
	s_or_b32 exec_lo, exec_lo, s78
	v_add_nc_u64_e32 v[10:11], 1, v[10:11]
	v_cmp_ge_i32_e32 vcc_lo, v10, v33
	s_or_b32 s77, vcc_lo, s77
	s_delay_alu instid0(SALU_CYCLE_1)
	s_and_not1_b32 exec_lo, exec_lo, s77
	s_cbranch_execz .LBB1_2
.LBB1_30:                               ;   Parent Loop BB1_4 Depth=1
                                        ; =>  This Loop Header: Depth=2
                                        ;       Child Loop BB1_34 Depth 3
                                        ;         Child Loop BB1_43 Depth 4
	s_delay_alu instid0(VALU_DEP_2)
	s_and_saveexec_b32 s78, s0
	s_cbranch_execz .LBB1_29
; %bb.31:                               ;   in Loop: Header=BB1_30 Depth=2
	v_mul_lo_u32 v3, v10, s13
	v_mov_b64_e32 v[16:17], v[6:7]
	s_mov_b32 s79, 0
	s_delay_alu instid0(VALU_DEP_2) | instskip(NEXT) | instid1(VALU_DEP_1)
	v_sub_nc_u32_e32 v14, v32, v3
	v_ashrrev_i32_e32 v15, 31, v14
	s_branch .LBB1_34
.LBB1_32:                               ;   in Loop: Header=BB1_34 Depth=3
	s_or_b32 exec_lo, exec_lo, s81
.LBB1_33:                               ;   in Loop: Header=BB1_34 Depth=3
	s_delay_alu instid0(SALU_CYCLE_1) | instskip(SKIP_1) | instid1(VALU_DEP_1)
	s_or_b32 exec_lo, exec_lo, s80
	v_add_nc_u64_e32 v[16:17], 1, v[16:17]
	v_cmp_ge_i32_e32 vcc_lo, v16, v34
	s_or_b32 s79, vcc_lo, s79
	s_delay_alu instid0(SALU_CYCLE_1)
	s_and_not1_b32 exec_lo, exec_lo, s79
	s_cbranch_execz .LBB1_28
.LBB1_34:                               ;   Parent Loop BB1_4 Depth=1
                                        ;     Parent Loop BB1_30 Depth=2
                                        ; =>    This Loop Header: Depth=3
                                        ;         Child Loop BB1_43 Depth 4
	s_and_saveexec_b32 s80, s1
	s_cbranch_execz .LBB1_33
; %bb.35:                               ;   in Loop: Header=BB1_34 Depth=3
	s_delay_alu instid0(VALU_DEP_1) | instskip(SKIP_1) | instid1(VALU_DEP_1)
	v_or_b32_e32 v3, s37, v15
	s_mov_b32 s2, exec_lo
                                        ; implicit-def: $vgpr18_vgpr19
	v_cmpx_ne_u64_e32 0, v[2:3]
	s_xor_b32 s2, exec_lo, s2
	s_cbranch_execz .LBB1_37
; %bb.36:                               ;   in Loop: Header=BB1_34 Depth=3
	s_ashr_i32 s3, s36, 31
	v_ashrrev_i32_e32 v19, 31, v14
	s_add_co_i32 s28, s36, s3
	s_delay_alu instid0(SALU_CYCLE_1) | instskip(NEXT) | instid1(VALU_DEP_1)
	s_xor_b32 s28, s28, s3
	v_add_nc_u32_e32 v20, v14, v19
	v_cvt_f32_u32_e32 v3, s28
	s_sub_co_i32 s56, 0, s28
	s_delay_alu instid0(VALU_DEP_2) | instskip(NEXT) | instid1(VALU_DEP_2)
	v_xor_b32_e32 v20, v20, v19
	v_rcp_iflag_f32_e32 v3, v3
	v_nop
	s_delay_alu instid0(TRANS32_DEP_1) | instskip(NEXT) | instid1(VALU_DEP_1)
	v_mul_f32_e32 v3, 0x4f7ffffe, v3
	v_cvt_u32_f32_e32 v3, v3
	s_delay_alu instid0(VALU_DEP_1) | instskip(NEXT) | instid1(VALU_DEP_1)
	v_mul_lo_u32 v18, s56, v3
	v_mul_hi_u32 v18, v3, v18
	s_delay_alu instid0(VALU_DEP_1) | instskip(NEXT) | instid1(VALU_DEP_1)
	v_add_nc_u32_e32 v3, v3, v18
	v_mul_hi_u32 v3, v20, v3
	s_delay_alu instid0(VALU_DEP_1) | instskip(NEXT) | instid1(VALU_DEP_1)
	v_mul_lo_u32 v18, v3, s28
	v_dual_sub_nc_u32 v18, v20, v18 :: v_dual_add_nc_u32 v20, 1, v3
	s_delay_alu instid0(VALU_DEP_1) | instskip(SKIP_1) | instid1(VALU_DEP_2)
	v_subrev_nc_u32_e32 v21, s28, v18
	v_cmp_le_u32_e32 vcc_lo, s28, v18
	v_dual_cndmask_b32 v18, v18, v21 :: v_dual_cndmask_b32 v3, v3, v20
	s_delay_alu instid0(VALU_DEP_1) | instskip(SKIP_1) | instid1(VALU_DEP_3)
	v_cmp_le_u32_e32 vcc_lo, s28, v18
	v_xor_b32_e32 v18, s3, v19
	v_add_nc_u32_e32 v20, 1, v3
	s_delay_alu instid0(VALU_DEP_1) | instskip(NEXT) | instid1(VALU_DEP_1)
	v_cndmask_b32_e32 v3, v3, v20, vcc_lo
	v_xor_b32_e32 v3, v3, v18
	s_delay_alu instid0(VALU_DEP_1) | instskip(NEXT) | instid1(VALU_DEP_1)
	v_sub_nc_u32_e32 v18, v3, v18
	v_ashrrev_i32_e32 v19, 31, v18
.LBB1_37:                               ;   in Loop: Header=BB1_34 Depth=3
	s_and_not1_saveexec_b32 s2, s2
	s_cbranch_execz .LBB1_39
; %bb.38:                               ;   in Loop: Header=BB1_34 Depth=3
	v_cvt_f32_u32_e32 v3, s36
	s_sub_co_i32 s3, 0, s36
	s_delay_alu instid0(VALU_DEP_1) | instskip(SKIP_1) | instid1(TRANS32_DEP_1)
	v_rcp_iflag_f32_e32 v3, v3
	v_nop
	v_mul_f32_e32 v3, 0x4f7ffffe, v3
	s_delay_alu instid0(VALU_DEP_1) | instskip(NEXT) | instid1(VALU_DEP_1)
	v_cvt_u32_f32_e32 v3, v3
	v_mul_lo_u32 v18, s3, v3
	s_delay_alu instid0(VALU_DEP_1) | instskip(NEXT) | instid1(VALU_DEP_1)
	v_mul_hi_u32 v18, v3, v18
	v_add_nc_u32_e32 v3, v3, v18
	s_delay_alu instid0(VALU_DEP_1) | instskip(NEXT) | instid1(VALU_DEP_1)
	v_mul_hi_u32 v3, v14, v3
	v_mul_lo_u32 v18, v3, s36
	s_delay_alu instid0(VALU_DEP_1) | instskip(NEXT) | instid1(VALU_DEP_1)
	v_dual_add_nc_u32 v19, 1, v3 :: v_dual_sub_nc_u32 v18, v14, v18
	v_subrev_nc_u32_e32 v20, s36, v18
	v_cmp_le_u32_e32 vcc_lo, s36, v18
	s_delay_alu instid0(VALU_DEP_2) | instskip(NEXT) | instid1(VALU_DEP_1)
	v_dual_cndmask_b32 v18, v18, v20 :: v_dual_cndmask_b32 v3, v3, v19
	v_cmp_le_u32_e32 vcc_lo, s36, v18
	s_delay_alu instid0(VALU_DEP_2) | instskip(NEXT) | instid1(VALU_DEP_1)
	v_add_nc_u32_e32 v19, 1, v3
	v_dual_cndmask_b32 v18, v3, v19 :: v_dual_mov_b32 v19, v2
.LBB1_39:                               ;   in Loop: Header=BB1_34 Depth=3
	s_or_b32 exec_lo, exec_lo, s2
	s_delay_alu instid0(VALU_DEP_1)
	v_mul_u64_e32 v[20:21], s[36:37], v[18:19]
	v_add_nc_u64_e32 v[18:19], v[18:19], v[12:13]
	v_mul_lo_u32 v3, v16, s14
	v_mov_b64_e32 v[24:25], v[4:5]
	s_mov_b32 s81, 0
	v_mov_b32_e32 v37, v8
	s_delay_alu instid0(VALU_DEP_4) | instskip(SKIP_2) | instid1(VALU_DEP_2)
	v_mul_u64_e32 v[18:19], s[42:43], v[18:19]
	v_sub_nc_u64_e32 v[22:23], v[14:15], v[20:21]
	v_sub_nc_u32_e32 v20, v31, v3
	v_cmp_eq_u64_e64 s2, 0, v[22:23]
	s_delay_alu instid0(VALU_DEP_2)
	v_dual_mov_b32 v22, v36 :: v_dual_ashrrev_i32 v21, 31, v20
	s_branch .LBB1_43
.LBB1_40:                               ;   in Loop: Header=BB1_43 Depth=4
	s_wait_xcnt 0x0
	s_or_b32 exec_lo, exec_lo, s3
.LBB1_41:                               ;   in Loop: Header=BB1_43 Depth=4
	s_delay_alu instid0(SALU_CYCLE_1)
	s_or_b32 exec_lo, exec_lo, s83
.LBB1_42:                               ;   in Loop: Header=BB1_43 Depth=4
	s_delay_alu instid0(SALU_CYCLE_1) | instskip(SKIP_3) | instid1(VALU_DEP_3)
	s_or_b32 exec_lo, exec_lo, s82
	v_add_nc_u32_e32 v37, 1, v37
	v_add_nc_u64_e32 v[24:25], 4, v[24:25]
	v_subrev_nc_u32_e32 v22, s15, v22
	v_cmp_ge_i32_e32 vcc_lo, v37, v35
	s_or_b32 s81, vcc_lo, s81
	s_delay_alu instid0(SALU_CYCLE_1)
	s_and_not1_b32 exec_lo, exec_lo, s81
	s_cbranch_execz .LBB1_32
.LBB1_43:                               ;   Parent Loop BB1_4 Depth=1
                                        ;     Parent Loop BB1_30 Depth=2
                                        ;       Parent Loop BB1_34 Depth=3
                                        ; =>      This Inner Loop Header: Depth=4
	s_delay_alu instid0(VALU_DEP_1) | instskip(NEXT) | instid1(VALU_DEP_3)
	v_ashrrev_i32_e32 v23, 31, v22
	s_and_saveexec_b32 s82, s2
	s_cbranch_execz .LBB1_42
; %bb.44:                               ;   in Loop: Header=BB1_43 Depth=4
	v_or_b32_e32 v3, s39, v21
	s_mov_b32 s3, exec_lo
                                        ; implicit-def: $vgpr26_vgpr27
	s_delay_alu instid0(VALU_DEP_1)
	v_cmpx_ne_u64_e32 0, v[2:3]
	s_xor_b32 s3, exec_lo, s3
	s_cbranch_execz .LBB1_46
; %bb.45:                               ;   in Loop: Header=BB1_43 Depth=4
	s_ashr_i32 s28, s38, 31
	v_ashrrev_i32_e32 v27, 31, v20
	s_add_co_i32 s56, s38, s28
	s_delay_alu instid0(SALU_CYCLE_1) | instskip(NEXT) | instid1(VALU_DEP_1)
	s_xor_b32 s56, s56, s28
	v_add_nc_u32_e32 v28, v20, v27
	v_cvt_f32_u32_e32 v3, s56
	s_sub_co_i32 s57, 0, s56
	s_delay_alu instid0(VALU_DEP_2) | instskip(NEXT) | instid1(VALU_DEP_2)
	v_xor_b32_e32 v28, v28, v27
	v_rcp_iflag_f32_e32 v3, v3
	v_nop
	s_delay_alu instid0(TRANS32_DEP_1) | instskip(NEXT) | instid1(VALU_DEP_1)
	v_mul_f32_e32 v3, 0x4f7ffffe, v3
	v_cvt_u32_f32_e32 v3, v3
	s_delay_alu instid0(VALU_DEP_1) | instskip(NEXT) | instid1(VALU_DEP_1)
	v_mul_lo_u32 v26, s57, v3
	v_mul_hi_u32 v26, v3, v26
	s_delay_alu instid0(VALU_DEP_1) | instskip(NEXT) | instid1(VALU_DEP_1)
	v_add_nc_u32_e32 v3, v3, v26
	v_mul_hi_u32 v3, v28, v3
	s_delay_alu instid0(VALU_DEP_1) | instskip(NEXT) | instid1(VALU_DEP_1)
	v_mul_lo_u32 v26, v3, s56
	v_dual_sub_nc_u32 v26, v28, v26 :: v_dual_add_nc_u32 v28, 1, v3
	s_delay_alu instid0(VALU_DEP_1) | instskip(SKIP_1) | instid1(VALU_DEP_2)
	v_subrev_nc_u32_e32 v29, s56, v26
	v_cmp_le_u32_e32 vcc_lo, s56, v26
	v_dual_cndmask_b32 v26, v26, v29 :: v_dual_cndmask_b32 v3, v3, v28
	s_delay_alu instid0(VALU_DEP_1) | instskip(SKIP_1) | instid1(VALU_DEP_3)
	v_cmp_le_u32_e32 vcc_lo, s56, v26
	v_xor_b32_e32 v26, s28, v27
	v_add_nc_u32_e32 v28, 1, v3
	s_delay_alu instid0(VALU_DEP_1) | instskip(NEXT) | instid1(VALU_DEP_1)
	v_cndmask_b32_e32 v3, v3, v28, vcc_lo
	v_xor_b32_e32 v3, v3, v26
	s_delay_alu instid0(VALU_DEP_1) | instskip(NEXT) | instid1(VALU_DEP_1)
	v_sub_nc_u32_e32 v26, v3, v26
	v_ashrrev_i32_e32 v27, 31, v26
.LBB1_46:                               ;   in Loop: Header=BB1_43 Depth=4
	s_and_not1_saveexec_b32 s3, s3
	s_cbranch_execz .LBB1_48
; %bb.47:                               ;   in Loop: Header=BB1_43 Depth=4
	v_cvt_f32_u32_e32 v3, s38
	s_sub_co_i32 s28, 0, s38
	s_delay_alu instid0(VALU_DEP_1) | instskip(SKIP_1) | instid1(TRANS32_DEP_1)
	v_rcp_iflag_f32_e32 v3, v3
	v_nop
	v_mul_f32_e32 v3, 0x4f7ffffe, v3
	s_delay_alu instid0(VALU_DEP_1) | instskip(NEXT) | instid1(VALU_DEP_1)
	v_cvt_u32_f32_e32 v3, v3
	v_mul_lo_u32 v26, s28, v3
	s_delay_alu instid0(VALU_DEP_1) | instskip(NEXT) | instid1(VALU_DEP_1)
	v_mul_hi_u32 v26, v3, v26
	v_add_nc_u32_e32 v3, v3, v26
	s_delay_alu instid0(VALU_DEP_1) | instskip(NEXT) | instid1(VALU_DEP_1)
	v_mul_hi_u32 v3, v20, v3
	v_mul_lo_u32 v26, v3, s38
	s_delay_alu instid0(VALU_DEP_1) | instskip(NEXT) | instid1(VALU_DEP_1)
	v_dual_add_nc_u32 v27, 1, v3 :: v_dual_sub_nc_u32 v26, v20, v26
	v_subrev_nc_u32_e32 v28, s38, v26
	v_cmp_le_u32_e32 vcc_lo, s38, v26
	s_delay_alu instid0(VALU_DEP_2) | instskip(NEXT) | instid1(VALU_DEP_1)
	v_dual_cndmask_b32 v26, v26, v28 :: v_dual_cndmask_b32 v3, v3, v27
	v_cmp_le_u32_e32 vcc_lo, s38, v26
	s_delay_alu instid0(VALU_DEP_2) | instskip(NEXT) | instid1(VALU_DEP_1)
	v_add_nc_u32_e32 v27, 1, v3
	v_dual_cndmask_b32 v26, v3, v27 :: v_dual_mov_b32 v27, v2
.LBB1_48:                               ;   in Loop: Header=BB1_43 Depth=4
	s_or_b32 exec_lo, exec_lo, s3
	s_delay_alu instid0(VALU_DEP_1) | instskip(SKIP_1) | instid1(VALU_DEP_1)
	v_mul_u64_e32 v[28:29], s[38:39], v[26:27]
	s_mov_b32 s83, exec_lo
	v_sub_nc_u64_e32 v[28:29], v[20:21], v[28:29]
	s_delay_alu instid0(VALU_DEP_1)
	v_cmpx_eq_u64_e32 0, v[28:29]
	s_cbranch_execz .LBB1_41
; %bb.49:                               ;   in Loop: Header=BB1_43 Depth=4
	v_or_b32_e32 v3, s17, v23
                                        ; implicit-def: $vgpr28_vgpr29
	s_mov_b32 s3, exec_lo
	s_delay_alu instid0(VALU_DEP_1)
	v_cmpx_ne_u64_e32 0, v[2:3]
	s_xor_b32 s84, exec_lo, s3
	s_cbranch_execz .LBB1_51
; %bb.50:                               ;   in Loop: Header=BB1_43 Depth=4
	s_ashr_i32 s56, s17, 31
	v_dual_mov_b32 v41, v2 :: v_dual_ashrrev_i32 v28, 31, v23
	s_mov_b32 s57, s56
	s_delay_alu instid0(SALU_CYCLE_1) | instskip(NEXT) | instid1(VALU_DEP_1)
	s_add_nc_u64 s[58:59], s[16:17], s[56:57]
	v_mov_b32_e32 v29, v28
	s_xor_b64 s[58:59], s[58:59], s[56:57]
	s_delay_alu instid0(SALU_CYCLE_1)
	s_cvt_f32_u32 s3, s58
	s_cvt_f32_u32 s28, s59
	s_sub_nc_u64 s[88:89], 0, s[58:59]
	v_add_nc_u64_e32 v[38:39], v[22:23], v[28:29]
	v_mov_b32_e32 v45, v2
	s_fmamk_f32 s3, s28, 0x4f800000, s3
	s_delay_alu instid0(SALU_CYCLE_3) | instskip(NEXT) | instid1(VALU_DEP_2)
	v_s_rcp_f32 s3, s3
	v_xor_b32_e32 v40, v38, v28
	s_delay_alu instid0(VALU_DEP_3) | instskip(SKIP_1) | instid1(TRANS32_DEP_1)
	v_dual_mov_b32 v49, v2 :: v_dual_bitop2_b32 v44, v39, v28 bitop3:0x14
	v_xor_b32_e32 v28, s56, v28
	s_mul_f32 s3, s3, 0x5f7ffffc
	s_delay_alu instid0(SALU_CYCLE_3) | instskip(NEXT) | instid1(SALU_CYCLE_3)
	s_mul_f32 s28, s3, 0x2f800000
	s_trunc_f32 s28, s28
	s_delay_alu instid0(SALU_CYCLE_3) | instskip(SKIP_1) | instid1(SALU_CYCLE_2)
	s_fmamk_f32 s3, s28, 0xcf800000, s3
	s_cvt_u32_f32 s87, s28
	s_cvt_u32_f32 s86, s3
	s_delay_alu instid0(SALU_CYCLE_3) | instskip(NEXT) | instid1(SALU_CYCLE_1)
	s_mul_u64 s[90:91], s[88:89], s[86:87]
	s_mul_hi_u32 s93, s86, s91
	s_mul_i32 s92, s86, s91
	s_mul_hi_u32 s28, s86, s90
	s_mul_i32 s57, s87, s90
	s_add_nc_u64 s[92:93], s[28:29], s[92:93]
	s_mul_hi_u32 s3, s87, s90
	s_mul_hi_u32 s85, s87, s91
	s_add_co_u32 s28, s92, s57
	s_add_co_ci_u32 s28, s93, s3
	s_mul_i32 s90, s87, s91
	s_add_co_ci_u32 s91, s85, 0
	s_delay_alu instid0(SALU_CYCLE_1) | instskip(NEXT) | instid1(SALU_CYCLE_1)
	s_add_nc_u64 s[90:91], s[28:29], s[90:91]
	s_add_co_u32 s86, s86, s90
	s_cselect_b32 s3, -1, 0
	s_delay_alu instid0(SALU_CYCLE_1) | instskip(SKIP_1) | instid1(SALU_CYCLE_1)
	s_cmp_lg_u32 s3, 0
	s_add_co_ci_u32 s87, s87, s91
	s_mul_u64 s[88:89], s[88:89], s[86:87]
	s_delay_alu instid0(SALU_CYCLE_1)
	s_mul_hi_u32 s91, s86, s89
	s_mul_i32 s90, s86, s89
	s_mul_hi_u32 s28, s86, s88
	s_mul_i32 s57, s87, s88
	s_add_nc_u64 s[90:91], s[28:29], s[90:91]
	s_mul_hi_u32 s3, s87, s88
	s_mul_hi_u32 s85, s87, s89
	s_add_co_u32 s28, s90, s57
	s_add_co_ci_u32 s28, s91, s3
	s_mul_i32 s88, s87, s89
	s_add_co_ci_u32 s89, s85, 0
	s_delay_alu instid0(SALU_CYCLE_1) | instskip(NEXT) | instid1(SALU_CYCLE_1)
	s_add_nc_u64 s[88:89], s[28:29], s[88:89]
	s_add_co_u32 s86, s86, s88
	s_cselect_b32 s3, -1, 0
	v_mul_hi_u32 v48, v40, s86
	s_cmp_lg_u32 s3, 0
	s_add_co_ci_u32 s28, s87, s89
	s_and_b64 s[88:89], s[86:87], s[50:51]
	v_mul_u64_e32 v[42:43], s[28:29], v[40:41]
	v_mul_u64_e32 v[38:39], s[88:89], v[44:45]
	;; [unrolled: 1-line block ×3, first 2 shown]
	s_delay_alu instid0(VALU_DEP_3) | instskip(NEXT) | instid1(VALU_DEP_1)
	v_add_nc_u64_e32 v[42:43], v[48:49], v[42:43]
	v_add_co_u32 v3, vcc_lo, v42, v38
	s_delay_alu instid0(VALU_DEP_2) | instskip(NEXT) | instid1(VALU_DEP_4)
	v_add_co_ci_u32_e32 v48, vcc_lo, v43, v39, vcc_lo
	v_add_co_ci_u32_e32 v47, vcc_lo, 0, v47, vcc_lo
	s_delay_alu instid0(VALU_DEP_1) | instskip(NEXT) | instid1(VALU_DEP_1)
	v_add_nc_u64_e32 v[38:39], v[48:49], v[46:47]
	v_mul_u64_e32 v[42:43], s[58:59], v[38:39]
	s_delay_alu instid0(VALU_DEP_1) | instskip(NEXT) | instid1(VALU_DEP_2)
	v_sub_nc_u32_e32 v3, v44, v43
	v_sub_co_u32 v29, vcc_lo, v40, v42
	s_delay_alu instid0(VALU_DEP_1) | instskip(NEXT) | instid1(VALU_DEP_3)
	v_sub_co_ci_u32_e64 v44, null, v44, v43, vcc_lo
	v_subrev_co_ci_u32_e64 v3, null, s59, v3, vcc_lo
	s_delay_alu instid0(VALU_DEP_3) | instskip(SKIP_1) | instid1(VALU_DEP_3)
	v_sub_co_u32 v40, s3, v29, s58
	v_add_nc_u64_e32 v[42:43], 1, v[38:39]
	v_subrev_co_ci_u32_e64 v3, null, 0, v3, s3
	s_delay_alu instid0(VALU_DEP_3) | instskip(SKIP_1) | instid1(VALU_DEP_3)
	v_cmp_le_u32_e32 vcc_lo, s58, v40
	v_cndmask_b32_e64 v40, 0, -1, vcc_lo
	v_cmp_le_u32_e32 vcc_lo, s59, v3
	v_cndmask_b32_e64 v41, 0, -1, vcc_lo
	;; [unrolled: 2-line block ×4, first 2 shown]
	v_cmp_eq_u32_e32 vcc_lo, s59, v3
	v_cndmask_b32_e32 v3, v41, v40, vcc_lo
	v_cmp_eq_u32_e32 vcc_lo, s59, v44
	v_add_nc_u64_e32 v[40:41], 2, v[38:39]
	v_cndmask_b32_e32 v29, v45, v29, vcc_lo
	s_delay_alu instid0(VALU_DEP_4) | instskip(NEXT) | instid1(VALU_DEP_2)
	v_cmp_ne_u32_e32 vcc_lo, 0, v3
	v_cmp_ne_u32_e64 s3, 0, v29
	s_delay_alu instid0(VALU_DEP_4) | instskip(NEXT) | instid1(VALU_DEP_1)
	v_dual_cndmask_b32 v3, v43, v41, vcc_lo :: v_dual_cndmask_b32 v29, v42, v40, vcc_lo
	v_dual_cndmask_b32 v38, v38, v29, s3 :: v_dual_mov_b32 v29, v28
	s_delay_alu instid0(VALU_DEP_1) | instskip(NEXT) | instid1(VALU_DEP_1)
	v_dual_cndmask_b32 v3, v39, v3, s3 :: v_dual_bitop2_b32 v38, v38, v28 bitop3:0x14
	v_xor_b32_e32 v39, v3, v28
	s_delay_alu instid0(VALU_DEP_1)
	v_sub_nc_u64_e32 v[28:29], v[38:39], v[28:29]
.LBB1_51:                               ;   in Loop: Header=BB1_43 Depth=4
	s_and_not1_saveexec_b32 s3, s84
	s_cbranch_execz .LBB1_53
; %bb.52:                               ;   in Loop: Header=BB1_43 Depth=4
	v_cvt_f32_u32_e32 v3, s16
	s_sub_co_i32 s28, 0, s16
	s_delay_alu instid0(VALU_DEP_1) | instskip(SKIP_1) | instid1(TRANS32_DEP_1)
	v_rcp_iflag_f32_e32 v3, v3
	v_nop
	v_mul_f32_e32 v3, 0x4f7ffffe, v3
	s_delay_alu instid0(VALU_DEP_1) | instskip(NEXT) | instid1(VALU_DEP_1)
	v_cvt_u32_f32_e32 v3, v3
	v_mul_lo_u32 v28, s28, v3
	s_delay_alu instid0(VALU_DEP_1) | instskip(NEXT) | instid1(VALU_DEP_1)
	v_mul_hi_u32 v28, v3, v28
	v_add_nc_u32_e32 v3, v3, v28
	s_delay_alu instid0(VALU_DEP_1) | instskip(NEXT) | instid1(VALU_DEP_1)
	v_mul_hi_u32 v3, v22, v3
	v_mul_lo_u32 v28, v3, s16
	s_delay_alu instid0(VALU_DEP_1) | instskip(NEXT) | instid1(VALU_DEP_1)
	v_dual_add_nc_u32 v29, 1, v3 :: v_dual_sub_nc_u32 v28, v22, v28
	v_subrev_nc_u32_e32 v38, s16, v28
	v_cmp_le_u32_e32 vcc_lo, s16, v28
	s_delay_alu instid0(VALU_DEP_2) | instskip(NEXT) | instid1(VALU_DEP_1)
	v_dual_cndmask_b32 v28, v28, v38 :: v_dual_cndmask_b32 v3, v3, v29
	v_cmp_le_u32_e32 vcc_lo, s16, v28
	s_delay_alu instid0(VALU_DEP_2) | instskip(NEXT) | instid1(VALU_DEP_1)
	v_add_nc_u32_e32 v29, 1, v3
	v_dual_cndmask_b32 v28, v3, v29 :: v_dual_mov_b32 v29, v2
.LBB1_53:                               ;   in Loop: Header=BB1_43 Depth=4
	s_or_b32 exec_lo, exec_lo, s3
	s_delay_alu instid0(VALU_DEP_1) | instskip(SKIP_1) | instid1(VALU_DEP_1)
	v_mul_u64_e32 v[38:39], s[16:17], v[28:29]
	s_mov_b32 s3, exec_lo
	v_sub_nc_u64_e32 v[38:39], v[22:23], v[38:39]
	s_delay_alu instid0(VALU_DEP_1)
	v_cmpx_eq_u64_e32 0, v[38:39]
	s_cbranch_execz .LBB1_40
; %bb.54:                               ;   in Loop: Header=BB1_43 Depth=4
	v_add_nc_u64_e32 v[26:27], v[18:19], v[26:27]
	s_delay_alu instid0(VALU_DEP_1) | instskip(NEXT) | instid1(VALU_DEP_1)
	v_mad_nc_u64_u32 v[28:29], v26, s66, v[28:29]
	v_mad_u32 v3, v27, s66, v29
	s_delay_alu instid0(VALU_DEP_2) | instskip(NEXT) | instid1(VALU_DEP_2)
	v_mad_nc_u64_u32 v[38:39], v28, s68, v[10:11]
	v_mad_u32 v3, v26, s18, v3
	s_delay_alu instid0(VALU_DEP_2) | instskip(NEXT) | instid1(VALU_DEP_2)
	v_mad_nc_u64_u32 v[26:27], s71, v38, v[16:17]
	v_mad_u32 v3, v3, s68, v39
	s_delay_alu instid0(VALU_DEP_2) | instskip(NEXT) | instid1(VALU_DEP_2)
	v_mad_u32 v23, s70, v38, v27
	v_mad_u32 v3, v28, s67, v3
	s_delay_alu instid0(VALU_DEP_4) | instskip(NEXT) | instid1(VALU_DEP_2)
	v_mad_nc_u64_u32 v[28:29], s52, v26, v[24:25]
	v_mad_u32 v3, s71, v3, v23
	s_delay_alu instid0(VALU_DEP_2) | instskip(NEXT) | instid1(VALU_DEP_1)
	v_mad_u32 v23, s53, v26, v29
	v_mad_u32 v29, s52, v3, v23
	global_load_b32 v3, v[28:29], off
	s_wait_loadcnt 0x0
	v_add_f32_e32 v9, v9, v3
	s_branch .LBB1_40
.LBB1_55:
	s_endpgm
	.section	.rodata,"a",@progbits
	.p2align	6, 0x0
	.amdhsa_kernel _Z14col2vol_kernelIffEvlPKT_iiiiiiiiiiiiiiiiiiPS0_
		.amdhsa_group_segment_fixed_size 0
		.amdhsa_private_segment_fixed_size 0
		.amdhsa_kernarg_size 352
		.amdhsa_user_sgpr_count 2
		.amdhsa_user_sgpr_dispatch_ptr 0
		.amdhsa_user_sgpr_queue_ptr 0
		.amdhsa_user_sgpr_kernarg_segment_ptr 1
		.amdhsa_user_sgpr_dispatch_id 0
		.amdhsa_user_sgpr_kernarg_preload_length 0
		.amdhsa_user_sgpr_kernarg_preload_offset 0
		.amdhsa_user_sgpr_private_segment_size 0
		.amdhsa_wavefront_size32 1
		.amdhsa_uses_dynamic_stack 0
		.amdhsa_enable_private_segment 0
		.amdhsa_system_sgpr_workgroup_id_x 1
		.amdhsa_system_sgpr_workgroup_id_y 0
		.amdhsa_system_sgpr_workgroup_id_z 0
		.amdhsa_system_sgpr_workgroup_info 0
		.amdhsa_system_vgpr_workitem_id 0
		.amdhsa_next_free_vgpr 50
		.amdhsa_next_free_sgpr 94
		.amdhsa_named_barrier_count 0
		.amdhsa_reserve_vcc 1
		.amdhsa_float_round_mode_32 0
		.amdhsa_float_round_mode_16_64 0
		.amdhsa_float_denorm_mode_32 3
		.amdhsa_float_denorm_mode_16_64 3
		.amdhsa_fp16_overflow 0
		.amdhsa_memory_ordered 1
		.amdhsa_forward_progress 1
		.amdhsa_inst_pref_size 51
		.amdhsa_round_robin_scheduling 0
		.amdhsa_exception_fp_ieee_invalid_op 0
		.amdhsa_exception_fp_denorm_src 0
		.amdhsa_exception_fp_ieee_div_zero 0
		.amdhsa_exception_fp_ieee_overflow 0
		.amdhsa_exception_fp_ieee_underflow 0
		.amdhsa_exception_fp_ieee_inexact 0
		.amdhsa_exception_int_div_zero 0
	.end_amdhsa_kernel
	.section	.text._Z14col2vol_kernelIffEvlPKT_iiiiiiiiiiiiiiiiiiPS0_,"axG",@progbits,_Z14col2vol_kernelIffEvlPKT_iiiiiiiiiiiiiiiiiiPS0_,comdat
.Lfunc_end1:
	.size	_Z14col2vol_kernelIffEvlPKT_iiiiiiiiiiiiiiiiiiPS0_, .Lfunc_end1-_Z14col2vol_kernelIffEvlPKT_iiiiiiiiiiiiiiiiiiPS0_
                                        ; -- End function
	.set _Z14col2vol_kernelIffEvlPKT_iiiiiiiiiiiiiiiiiiPS0_.num_vgpr, 50
	.set _Z14col2vol_kernelIffEvlPKT_iiiiiiiiiiiiiiiiiiPS0_.num_agpr, 0
	.set _Z14col2vol_kernelIffEvlPKT_iiiiiiiiiiiiiiiiiiPS0_.numbered_sgpr, 94
	.set _Z14col2vol_kernelIffEvlPKT_iiiiiiiiiiiiiiiiiiPS0_.num_named_barrier, 0
	.set _Z14col2vol_kernelIffEvlPKT_iiiiiiiiiiiiiiiiiiPS0_.private_seg_size, 0
	.set _Z14col2vol_kernelIffEvlPKT_iiiiiiiiiiiiiiiiiiPS0_.uses_vcc, 1
	.set _Z14col2vol_kernelIffEvlPKT_iiiiiiiiiiiiiiiiiiPS0_.uses_flat_scratch, 0
	.set _Z14col2vol_kernelIffEvlPKT_iiiiiiiiiiiiiiiiiiPS0_.has_dyn_sized_stack, 0
	.set _Z14col2vol_kernelIffEvlPKT_iiiiiiiiiiiiiiiiiiPS0_.has_recursion, 0
	.set _Z14col2vol_kernelIffEvlPKT_iiiiiiiiiiiiiiiiiiPS0_.has_indirect_call, 0
	.section	.AMDGPU.csdata,"",@progbits
; Kernel info:
; codeLenInByte = 6412
; TotalNumSgprs: 96
; NumVgprs: 50
; ScratchSize: 0
; MemoryBound: 0
; FloatMode: 240
; IeeeMode: 1
; LDSByteSize: 0 bytes/workgroup (compile time only)
; SGPRBlocks: 0
; VGPRBlocks: 3
; NumSGPRsForWavesPerEU: 96
; NumVGPRsForWavesPerEU: 50
; NamedBarCnt: 0
; Occupancy: 16
; WaveLimiterHint : 0
; COMPUTE_PGM_RSRC2:SCRATCH_EN: 0
; COMPUTE_PGM_RSRC2:USER_SGPR: 2
; COMPUTE_PGM_RSRC2:TRAP_HANDLER: 0
; COMPUTE_PGM_RSRC2:TGID_X_EN: 1
; COMPUTE_PGM_RSRC2:TGID_Y_EN: 0
; COMPUTE_PGM_RSRC2:TGID_Z_EN: 0
; COMPUTE_PGM_RSRC2:TIDIG_COMP_CNT: 0
	.section	.AMDGPU.gpr_maximums,"",@progbits
	.set amdgpu.max_num_vgpr, 0
	.set amdgpu.max_num_agpr, 0
	.set amdgpu.max_num_sgpr, 0
	.section	.AMDGPU.csdata,"",@progbits
	.type	__hip_cuid_868014f406678670,@object ; @__hip_cuid_868014f406678670
	.section	.bss,"aw",@nobits
	.globl	__hip_cuid_868014f406678670
__hip_cuid_868014f406678670:
	.byte	0                               ; 0x0
	.size	__hip_cuid_868014f406678670, 1

	.ident	"AMD clang version 22.0.0git (https://github.com/RadeonOpenCompute/llvm-project roc-7.2.4 26084 f58b06dce1f9c15707c5f808fd002e18c2accf7e)"
	.section	".note.GNU-stack","",@progbits
	.addrsig
	.addrsig_sym __hip_cuid_868014f406678670
	.amdgpu_metadata
---
amdhsa.kernels:
  - .args:
      - .offset:         0
        .size:           8
        .value_kind:     by_value
      - .address_space:  global
        .offset:         8
        .size:           8
        .value_kind:     global_buffer
      - .offset:         16
        .size:           4
        .value_kind:     by_value
      - .offset:         20
        .size:           4
        .value_kind:     by_value
      - .offset:         24
        .size:           4
        .value_kind:     by_value
      - .offset:         28
        .size:           4
        .value_kind:     by_value
      - .offset:         32
        .size:           4
        .value_kind:     by_value
      - .offset:         36
        .size:           4
        .value_kind:     by_value
      - .offset:         40
        .size:           4
        .value_kind:     by_value
      - .offset:         44
        .size:           4
        .value_kind:     by_value
      - .offset:         48
        .size:           4
        .value_kind:     by_value
      - .offset:         52
        .size:           4
        .value_kind:     by_value
      - .offset:         56
        .size:           4
        .value_kind:     by_value
      - .offset:         60
        .size:           4
        .value_kind:     by_value
      - .offset:         64
        .size:           4
        .value_kind:     by_value
      - .offset:         68
        .size:           4
        .value_kind:     by_value
      - .offset:         72
        .size:           4
        .value_kind:     by_value
      - .offset:         76
        .size:           4
        .value_kind:     by_value
      - .offset:         80
        .size:           4
        .value_kind:     by_value
      - .offset:         84
        .size:           4
        .value_kind:     by_value
      - .address_space:  global
        .offset:         88
        .size:           8
        .value_kind:     global_buffer
      - .offset:         96
        .size:           4
        .value_kind:     hidden_block_count_x
      - .offset:         100
        .size:           4
        .value_kind:     hidden_block_count_y
      - .offset:         104
        .size:           4
        .value_kind:     hidden_block_count_z
      - .offset:         108
        .size:           2
        .value_kind:     hidden_group_size_x
      - .offset:         110
        .size:           2
        .value_kind:     hidden_group_size_y
      - .offset:         112
        .size:           2
        .value_kind:     hidden_group_size_z
      - .offset:         114
        .size:           2
        .value_kind:     hidden_remainder_x
      - .offset:         116
        .size:           2
        .value_kind:     hidden_remainder_y
      - .offset:         118
        .size:           2
        .value_kind:     hidden_remainder_z
      - .offset:         136
        .size:           8
        .value_kind:     hidden_global_offset_x
      - .offset:         144
        .size:           8
        .value_kind:     hidden_global_offset_y
      - .offset:         152
        .size:           8
        .value_kind:     hidden_global_offset_z
      - .offset:         160
        .size:           2
        .value_kind:     hidden_grid_dims
    .group_segment_fixed_size: 0
    .kernarg_segment_align: 8
    .kernarg_segment_size: 352
    .language:       OpenCL C
    .language_version:
      - 2
      - 0
    .max_flat_workgroup_size: 1024
    .name:           _Z14vol2col_kernelIfEvlPKT_iiiiiiiiiiiiiiiiiiPS0_
    .private_segment_fixed_size: 0
    .sgpr_count:     66
    .sgpr_spill_count: 0
    .symbol:         _Z14vol2col_kernelIfEvlPKT_iiiiiiiiiiiiiiiiiiPS0_.kd
    .uniform_work_group_size: 1
    .uses_dynamic_stack: false
    .vgpr_count:     24
    .vgpr_spill_count: 0
    .wavefront_size: 32
  - .args:
      - .offset:         0
        .size:           8
        .value_kind:     by_value
      - .address_space:  global
        .offset:         8
        .size:           8
        .value_kind:     global_buffer
      - .offset:         16
        .size:           4
        .value_kind:     by_value
      - .offset:         20
        .size:           4
        .value_kind:     by_value
      - .offset:         24
        .size:           4
        .value_kind:     by_value
      - .offset:         28
        .size:           4
        .value_kind:     by_value
      - .offset:         32
        .size:           4
        .value_kind:     by_value
      - .offset:         36
        .size:           4
        .value_kind:     by_value
      - .offset:         40
        .size:           4
        .value_kind:     by_value
      - .offset:         44
        .size:           4
        .value_kind:     by_value
      - .offset:         48
        .size:           4
        .value_kind:     by_value
      - .offset:         52
        .size:           4
        .value_kind:     by_value
      - .offset:         56
        .size:           4
        .value_kind:     by_value
      - .offset:         60
        .size:           4
        .value_kind:     by_value
      - .offset:         64
        .size:           4
        .value_kind:     by_value
      - .offset:         68
        .size:           4
        .value_kind:     by_value
      - .offset:         72
        .size:           4
        .value_kind:     by_value
      - .offset:         76
        .size:           4
        .value_kind:     by_value
      - .offset:         80
        .size:           4
        .value_kind:     by_value
      - .offset:         84
        .size:           4
        .value_kind:     by_value
      - .address_space:  global
        .offset:         88
        .size:           8
        .value_kind:     global_buffer
      - .offset:         96
        .size:           4
        .value_kind:     hidden_block_count_x
      - .offset:         100
        .size:           4
        .value_kind:     hidden_block_count_y
      - .offset:         104
        .size:           4
        .value_kind:     hidden_block_count_z
      - .offset:         108
        .size:           2
        .value_kind:     hidden_group_size_x
      - .offset:         110
        .size:           2
        .value_kind:     hidden_group_size_y
      - .offset:         112
        .size:           2
        .value_kind:     hidden_group_size_z
      - .offset:         114
        .size:           2
        .value_kind:     hidden_remainder_x
      - .offset:         116
        .size:           2
        .value_kind:     hidden_remainder_y
      - .offset:         118
        .size:           2
        .value_kind:     hidden_remainder_z
      - .offset:         136
        .size:           8
        .value_kind:     hidden_global_offset_x
      - .offset:         144
        .size:           8
        .value_kind:     hidden_global_offset_y
      - .offset:         152
        .size:           8
        .value_kind:     hidden_global_offset_z
      - .offset:         160
        .size:           2
        .value_kind:     hidden_grid_dims
    .group_segment_fixed_size: 0
    .kernarg_segment_align: 8
    .kernarg_segment_size: 352
    .language:       OpenCL C
    .language_version:
      - 2
      - 0
    .max_flat_workgroup_size: 1024
    .name:           _Z14col2vol_kernelIffEvlPKT_iiiiiiiiiiiiiiiiiiPS0_
    .private_segment_fixed_size: 0
    .sgpr_count:     96
    .sgpr_spill_count: 0
    .symbol:         _Z14col2vol_kernelIffEvlPKT_iiiiiiiiiiiiiiiiiiPS0_.kd
    .uniform_work_group_size: 1
    .uses_dynamic_stack: false
    .vgpr_count:     50
    .vgpr_spill_count: 0
    .wavefront_size: 32
amdhsa.target:   amdgcn-amd-amdhsa--gfx1250
amdhsa.version:
  - 1
  - 2
...

	.end_amdgpu_metadata
